;; amdgpu-corpus repo=ROCm/aiter kind=harvested arch=n/a opt=n/a

/root/src/amdgpu-assembly/repos/ROCm__aiter/hsa/gfx942/fmoe/gelu/fmoe_fp16_pertokenInt8_g1u1_tkw1_gelu_1tg_ps_32x448.co:	file format elf64-amdgpu

Disassembly of section .text:

0000000000002e00 <_ZN5aiter51fmoe_fp16_pertokenInt8_g1u1_tkw1_gelu_1tg_ps_32x448E>:
	v_lshrrev_b32_e32 v1, 10, v0                               // 000000002E00: 2002008A
	v_lshrrev_b32_e32 v2, 10, v1                               // 000000002E04: 2004028A
	v_and_b32_e32 v2, 0x3ff, v2                                // 000000002E08: 260404FF 000003FF
	v_and_b32_e32 v1, 0x3ff, v1                                // 000000002E10: 260202FF 000003FF
	v_and_b32_e32 v0, 0x3ff, v0                                // 000000002E18: 260000FF 000003FF
	v_lshrrev_b32_e32 v3, 6, v0                                // 000000002E20: 20060086
	v_and_b32_e32 v0, 63, v0                                   // 000000002E24: 260000BF
	s_mov_b32 s2, s2                                           // 000000002E28: BE820002
	s_mov_b32 s3, s3                                           // 000000002E2C: BE830003
	s_mov_b32 s4, s4                                           // 000000002E30: BE840004
	s_mov_b32 s99, s2                                          // 000000002E34: BEE30002
	v_readfirstlane_b32 s7, v3                                 // 000000002E38: 7E0E0503
	s_and_b32 s1, s1, 0xffff                                   // 000000002E3C: 8601FF01 0000FFFF
	s_mov_b32 s96, 0                                           // 000000002E44: BEE00080
	s_mov_b32 s97, 0                                           // 000000002E48: BEE10080
	s_mov_b32 s100, 0                                          // 000000002E4C: BEE40080
	s_load_dword s96, s[0:1], 0x1a0                            // 000000002E50: C0021800 000001A0
	s_load_dword s97, s[0:1], 0x1b0                            // 000000002E58: C0021840 000001B0
	s_waitcnt lgkmcnt(0)                                       // 000000002E60: BF8CC07F
	s_cmp_eq_u32 s96, 0                                        // 000000002E64: BF068060
	s_cbranch_scc1 label_005C                                  // 000000002E68: BF850041
	v_cvt_f32_u32_e32 v52, s97                                 // 000000002E6C: 7E680C61
	s_sub_i32 s60, 0, s97                                      // 000000002E70: 81BC6180
	v_rcp_iflag_f32_e32 v52, v52                               // 000000002E74: 7E684734
	s_nop 0                                                    // 000000002E78: BF800000
	v_mul_f32_e32 v52, 0x4f7ffffe, v52                         // 000000002E7C: 0A6868FF 4F7FFFFE
	v_cvt_u32_f32_e32 v52, v52                                 // 000000002E84: 7E680F34
	v_mul_lo_u32 v53, s60, v52                                 // 000000002E88: D2850035 0002683C
	v_mul_hi_u32 v53, v52, v53                                 // 000000002E90: D2860035 00026B34
	v_add_u32_e32 v52, v52, v53                                // 000000002E98: 68686B34
	v_mul_hi_u32 v52, s96, v52                                 // 000000002E9C: D2860034 00026860
	v_mul_lo_u32 v53, v52, s97                                 // 000000002EA4: D2850035 0000C334
	v_sub_u32_e32 v55, s96, v53                                // 000000002EAC: 6A6E6A60
	v_add_u32_e32 v54, 1, v52                                  // 000000002EB0: 686C6881
	v_cmp_le_u32_e32 vcc, s97, v55                             // 000000002EB4: 7D966E61
	v_subrev_u32_e32 v53, s97, v55                             // 000000002EB8: 6C6A6E61
	s_nop 0                                                    // 000000002EBC: BF800000
	v_cndmask_b32_e32 v52, v52, v54, vcc                       // 000000002EC0: 00686D34
	v_cndmask_b32_e32 v55, v55, v53, vcc                       // 000000002EC4: 006E6B37
	v_add_u32_e32 v53, 1, v52                                  // 000000002EC8: 686A6881
	v_cmp_le_u32_e32 vcc, s97, v55                             // 000000002ECC: 7D966E61
	s_nop 1                                                    // 000000002ED0: BF800001
	v_cndmask_b32_e32 v55, v52, v53, vcc                       // 000000002ED4: 006E6B34
	s_nop 3                                                    // 000000002ED8: BF800003
	v_readfirstlane_b32 s98, v55                               // 000000002EDC: 7EC40537
	s_nop 3                                                    // 000000002EE0: BF800003

0000000000002ee4 <label_0039>:
	s_mov_b32 s4, 0                                            // 000000002EE4: BE840080
	v_cvt_f32_u32_e32 v52, s97                                 // 000000002EE8: 7E680C61
	s_sub_i32 s60, 0, s97                                      // 000000002EEC: 81BC6180
	v_rcp_iflag_f32_e32 v52, v52                               // 000000002EF0: 7E684734
	s_nop 0                                                    // 000000002EF4: BF800000
	v_mul_f32_e32 v52, 0x4f7ffffe, v52                         // 000000002EF8: 0A6868FF 4F7FFFFE
	v_cvt_u32_f32_e32 v52, v52                                 // 000000002F00: 7E680F34
	v_mul_lo_u32 v53, s60, v52                                 // 000000002F04: D2850035 0002683C
	v_mul_hi_u32 v53, v52, v53                                 // 000000002F0C: D2860035 00026B34
	v_add_u32_e32 v52, v52, v53                                // 000000002F14: 68686B34
	v_mul_hi_u32 v52, s99, v52                                 // 000000002F18: D2860034 00026863
	v_mul_lo_u32 v53, v52, s97                                 // 000000002F20: D2850035 0000C334
	v_sub_u32_e32 v55, s99, v53                                // 000000002F28: 6A6E6A63
	v_add_u32_e32 v54, 1, v52                                  // 000000002F2C: 686C6881
	v_cmp_le_u32_e32 vcc, s97, v55                             // 000000002F30: 7D966E61
	v_subrev_u32_e32 v53, s97, v55                             // 000000002F34: 6C6A6E61
	s_nop 0                                                    // 000000002F38: BF800000
	v_cndmask_b32_e32 v52, v52, v54, vcc                       // 000000002F3C: 00686D34
	v_cndmask_b32_e32 v55, v55, v53, vcc                       // 000000002F40: 006E6B37
	v_add_u32_e32 v53, 1, v52                                  // 000000002F44: 686A6881
	v_cmp_le_u32_e32 vcc, s97, v55                             // 000000002F48: 7D966E61
	s_nop 1                                                    // 000000002F4C: BF800001
	v_cndmask_b32_e32 v55, v52, v53, vcc                       // 000000002F50: 006E6B34
	s_nop 3                                                    // 000000002F54: BF800003
	v_readfirstlane_b32 s3, v55                                // 000000002F58: 7E060537
	s_nop 3                                                    // 000000002F5C: BF800003
	s_mul_i32 s60, s3, s97                                     // 000000002F60: 923C6103
	s_sub_u32 s2, s99, s60                                     // 000000002F64: 80823C63
	s_mul_i32 s60, s98, s100                                   // 000000002F68: 923C6462
	s_add_i32 s3, s3, s60                                      // 000000002F6C: 81033C03

0000000000002f70 <label_005C>:
	s_and_b32 s1, s1, 0xffff                                   // 000000002F70: 8601FF01 0000FFFF
	s_load_dwordx2 s[8:9], s[0:1], 0x0                         // 000000002F78: C0060200 00000000
	s_load_dwordx2 s[20:21], s[0:1], 0x10                      // 000000002F80: C0060500 00000010
	s_load_dwordx2 s[24:25], s[0:1], 0x20                      // 000000002F88: C0060600 00000020
	s_load_dwordx2 s[50:51], s[0:1], 0x30                      // 000000002F90: C0060C80 00000030
	s_load_dwordx2 s[12:13], s[0:1], 0x40                      // 000000002F98: C0060300 00000040
	s_load_dwordx2 s[28:29], s[0:1], 0x50                      // 000000002FA0: C0060700 00000050
	s_load_dwordx2 s[32:33], s[0:1], 0x60                      // 000000002FA8: C0060800 00000060
	s_load_dwordx2 s[16:17], s[0:1], 0x70                      // 000000002FB0: C0060400 00000070
	s_load_dwordx2 s[36:37], s[0:1], 0x80                      // 000000002FB8: C0060900 00000080
	s_load_dwordx2 s[44:45], s[0:1], 0x90                      // 000000002FC0: C0060B00 00000090
	s_load_dwordx2 s[40:41], s[0:1], 0xa0                      // 000000002FC8: C0060A00 000000A0
	s_load_dwordx2 s[46:47], s[0:1], 0xb0                      // 000000002FD0: C0060B80 000000B0
	s_load_dword s64, s[0:1], 0xc0                             // 000000002FD8: C0021000 000000C0
	s_load_dword s65, s[0:1], 0xd0                             // 000000002FE0: C0021040 000000D0
	s_load_dword s67, s[0:1], 0xf0                             // 000000002FE8: C00210C0 000000F0
	s_load_dword s68, s[0:1], 0x100                            // 000000002FF0: C0021100 00000100
	s_load_dword s69, s[0:1], 0x110                            // 000000002FF8: C0021140 00000110
	s_load_dword s70, s[0:1], 0x120                            // 000000003000: C0021180 00000120
	s_load_dword s71, s[0:1], 0x130                            // 000000003008: C00211C0 00000130
	s_load_dword s72, s[0:1], 0x140                            // 000000003010: C0021200 00000140
	s_load_dword s73, s[0:1], 0x150                            // 000000003018: C0021240 00000150
	s_load_dword s74, s[0:1], 0x160                            // 000000003020: C0021280 00000160
	s_load_dword s75, s[0:1], 0x170                            // 000000003028: C00212C0 00000170
	s_load_dword s76, s[0:1], 0x180                            // 000000003030: C0021300 00000180
	s_mov_b32 s2, s2                                           // 000000003038: BE820002
	s_mov_b32 s3, s3                                           // 00000000303C: BE830003
	s_mov_b32 s4, s4                                           // 000000003040: BE840004
	s_waitcnt lgkmcnt(0)                                       // 000000003044: BF8CC07F
	s_and_b32 s51, s51, 0xffff                                 // 000000003048: 8633FF33 0000FFFF
	s_load_dword s66, s[50:51], 0x4                            // 000000003050: C0021099 00000004
	s_load_dword s50, s[50:51], 0x0                            // 000000003058: C0020C99 00000000
	s_waitcnt lgkmcnt(0)                                       // 000000003060: BF8CC07F
	s_and_b32 s45, s45, 0xffff                                 // 000000003064: 862DFF2D 0000FFFF
	s_and_b32 s47, s47, 0xffff                                 // 00000000306C: 862FFF2F 0000FFFF
	s_and_b32 s9, s9, 0xffff                                   // 000000003074: 8609FF09 0000FFFF
	s_mul_i32 s60, s66, s68                                    // 00000000307C: 923C4442
	s_mul_i32 s61, s66, 4                                      // 000000003080: 923D8442
	s_mov_b32 s22, s60                                         // 000000003084: BE96003C
	s_mov_b32 s26, 0x80000000                                  // 000000003088: BE9A00FF 80000000
	s_mov_b32 s14, 0x80000000                                  // 000000003090: BE8E00FF 80000000
	s_mov_b32 s42, 0x80000000                                  // 000000003098: BEAA00FF 80000000
	s_mov_b32 s30, s61                                         // 0000000030A0: BE9E003D
	s_mov_b32 s34, 0x700                                       // 0000000030A4: BEA200FF 00000700
	s_mov_b32 s38, 0x700                                       // 0000000030AC: BEA600FF 00000700
	s_mov_b32 s18, 0x80000000                                  // 0000000030B4: BE9200FF 80000000
	s_mov_b32 s23, 0x20000                                     // 0000000030BC: BE9700FF 00020000
	s_mov_b32 s27, 0x20000                                     // 0000000030C4: BE9B00FF 00020000
	s_mov_b32 s15, 0x20000                                     // 0000000030CC: BE8F00FF 00020000
	s_mov_b32 s43, 0x20000                                     // 0000000030D4: BEAB00FF 00020000
	s_mov_b32 s31, 0x20000                                     // 0000000030DC: BE9F00FF 00020000
	s_mov_b32 s35, 0x20000                                     // 0000000030E4: BEA300FF 00020000
	s_mov_b32 s39, 0x20000                                     // 0000000030EC: BEA700FF 00020000
	s_mov_b32 s19, 0x20000                                     // 0000000030F4: BE9300FF 00020000
	s_and_b32 s21, s21, 0xffff                                 // 0000000030FC: 8615FF15 0000FFFF
	s_and_b32 s25, s25, 0xffff                                 // 000000003104: 8619FF19 0000FFFF
	s_and_b32 s13, s13, 0xffff                                 // 00000000310C: 860DFF0D 0000FFFF
	s_and_b32 s41, s41, 0xffff                                 // 000000003114: 8629FF29 0000FFFF
	s_and_b32 s29, s29, 0xffff                                 // 00000000311C: 861DFF1D 0000FFFF
	s_and_b32 s33, s33, 0xffff                                 // 000000003124: 8621FF21 0000FFFF
	s_and_b32 s37, s37, 0xffff                                 // 00000000312C: 8625FF25 0000FFFF
	s_and_b32 s17, s17, 0xffff                                 // 000000003134: 8611FF11 0000FFFF
	s_or_b32 s21, s21, 0x40000                                 // 00000000313C: 8715FF15 00040000
	s_or_b32 s25, s25, 0x40000                                 // 000000003144: 8719FF19 00040000
	s_or_b32 s13, s13, 0x40000                                 // 00000000314C: 870DFF0D 00040000
	s_or_b32 s41, s41, 0x40000                                 // 000000003154: 8729FF29 00040000
	s_or_b32 s29, s29, 0x40000                                 // 00000000315C: 871DFF1D 00040000
	s_or_b32 s33, s33, 0x40000                                 // 000000003164: 8721FF21 00040000
	s_or_b32 s37, s37, 0x40000                                 // 00000000316C: 8725FF25 00040000
	s_or_b32 s17, s17, 0x40000                                 // 000000003174: 8711FF11 00040000
	v_accvgpr_write_b32 a223, 0                                // 00000000317C: D3D940DF 18000080
	v_mov_b32_e32 v247, 0                                      // 000000003184: 7FEE0280
	s_waitcnt lgkmcnt(0)                                       // 000000003188: BF8CC07F
	s_mul_i32 s60, s3, 32                                      // 00000000318C: 923CA003
	s_cmp_lt_i32 s60, s50                                      // 000000003190: BF04323C
	s_cbranch_scc0 label_2542                                  // 000000003194: BF84245C
	s_mov_b32 s80, 0                                           // 000000003198: BED00080
	s_mov_b32 s81, s64                                         // 00000000319C: BED10040
	s_mul_i32 s60, s3, 4                                       // 0000000031A0: 923C8403
	s_add_u32 s46, s60, s46                                    // 0000000031A4: 802E2E3C
	s_addc_u32 s47, 0, s47                                     // 0000000031A8: 822F2F80
	s_load_dword s5, s[46:47], 0x0                             // 0000000031AC: C0020157 00000000
	s_mul_i32 s60, s3, 32                                      // 0000000031B4: 923CA003
	s_mul_i32 s60, 4, s60                                      // 0000000031B8: 923C3C84
	v_and_b32_e32 v52, 15, v0                                  // 0000000031BC: 2668008F
	v_lshlrev_b32_e32 v52, 2, v52                              // 0000000031C0: 24686882
	v_add_u32_e32 v52, s60, v52                                // 0000000031C4: 6868683C
	v_mov_b32_e32 v53, 0                                       // 0000000031C8: 7E6A0280
	global_load_dword v6, v52, s[44:45]                        // 0000000031CC: DC508000 062C0034
	v_add_u32_e32 v52, 64, v52                                 // 0000000031D4: 686868C0
	global_load_dword v7, v52, s[44:45]                        // 0000000031D8: DC508000 072C0034
	s_mul_i32 s60, s3, 32                                      // 0000000031E0: 923CA003
	s_add_u32 s60, s7, s60                                     // 0000000031E4: 803C3C07
	s_mul_i32 s60, 4, s60                                      // 0000000031E8: 923C3C84
	s_add_u32 s44, s60, s44                                    // 0000000031EC: 802C2C3C
	s_addc_u32 s45, 0, s45                                     // 0000000031F0: 822D2D80
	s_load_dword s82, s[44:45], 0x0                            // 0000000031F4: C0021496 00000000
	s_load_dword s83, s[44:45], 0x10                           // 0000000031FC: C00214D6 00000010
	s_load_dword s84, s[44:45], 0x20                           // 000000003204: C0021516 00000020
	s_load_dword s85, s[44:45], 0x30                           // 00000000320C: C0021556 00000030
	s_load_dword s86, s[44:45], 0x40                           // 000000003214: C0021596 00000040
	s_load_dword s87, s[44:45], 0x50                           // 00000000321C: C00215D6 00000050
	s_load_dword s88, s[44:45], 0x60                           // 000000003224: C0021616 00000060
	s_load_dword s89, s[44:45], 0x70                           // 00000000322C: C0021656 00000070
	s_waitcnt lgkmcnt(0)                                       // 000000003234: BF8CC07F
	v_lshlrev_b32_e32 v52, 2, v0                               // 000000003238: 24680082
	s_and_b32 s82, s82, 0xffffff                               // 00000000323C: 8652FF52 00FFFFFF
	s_mul_i32 s60, s82, s68                                    // 000000003244: 923C4452
	v_add_u32_e64 v26, v52, s60                                // 000000003248: D134001A 00007934
	s_and_b32 s83, s83, 0xffffff                               // 000000003250: 8653FF53 00FFFFFF
	s_mul_i32 s60, s83, s68                                    // 000000003258: 923C4453
	v_add_u32_e64 v27, v52, s60                                // 00000000325C: D134001B 00007934
	s_and_b32 s84, s84, 0xffffff                               // 000000003264: 8654FF54 00FFFFFF
	s_mul_i32 s60, s84, s68                                    // 00000000326C: 923C4454
	v_add_u32_e64 v28, v52, s60                                // 000000003270: D134001C 00007934
	s_and_b32 s85, s85, 0xffffff                               // 000000003278: 8655FF55 00FFFFFF
	s_mul_i32 s60, s85, s68                                    // 000000003280: 923C4455
	v_add_u32_e64 v29, v52, s60                                // 000000003284: D134001D 00007934
	s_and_b32 s86, s86, 0xffffff                               // 00000000328C: 8656FF56 00FFFFFF
	s_mul_i32 s60, s86, s68                                    // 000000003294: 923C4456
	v_add_u32_e64 v30, v52, s60                                // 000000003298: D134001E 00007934
	s_and_b32 s87, s87, 0xffffff                               // 0000000032A0: 8657FF57 00FFFFFF
	s_mul_i32 s60, s87, s68                                    // 0000000032A8: 923C4457
	v_add_u32_e64 v31, v52, s60                                // 0000000032AC: D134001F 00007934
	s_and_b32 s88, s88, 0xffffff                               // 0000000032B4: 8658FF58 00FFFFFF
	s_mul_i32 s60, s88, s68                                    // 0000000032BC: 923C4458
	v_add_u32_e64 v32, v52, s60                                // 0000000032C0: D1340020 00007934
	s_and_b32 s89, s89, 0xffffff                               // 0000000032C8: 8659FF59 00FFFFFF
	s_mul_i32 s60, s89, s68                                    // 0000000032D0: 923C4459
	v_add_u32_e64 v33, v52, s60                                // 0000000032D4: D1340021 00007934
	v_lshlrev_b32_e32 v52, 2, v0                               // 0000000032DC: 24680082
	s_mul_i32 s60, s82, s71                                    // 0000000032E0: 923C4752
	v_add_u32_e64 v80, v52, s60                                // 0000000032E4: D1340050 00007934
	v_mov_b32_e32 v81, 0                                       // 0000000032EC: 7EA20280
	s_mul_i32 s60, s83, s71                                    // 0000000032F0: 923C4753
	v_add_u32_e64 v82, v52, s60                                // 0000000032F4: D1340052 00007934
	v_mov_b32_e32 v83, 0                                       // 0000000032FC: 7EA60280
	s_mul_i32 s60, s84, s71                                    // 000000003300: 923C4754
	v_add_u32_e64 v84, v52, s60                                // 000000003304: D1340054 00007934
	v_mov_b32_e32 v85, 0                                       // 00000000330C: 7EAA0280
	s_mul_i32 s60, s85, s71                                    // 000000003310: 923C4755
	v_add_u32_e64 v86, v52, s60                                // 000000003314: D1340056 00007934
	v_mov_b32_e32 v87, 0                                       // 00000000331C: 7EAE0280
	s_mul_i32 s60, s86, s71                                    // 000000003320: 923C4756
	v_add_u32_e64 v88, v52, s60                                // 000000003324: D1340058 00007934
	v_mov_b32_e32 v89, 0                                       // 00000000332C: 7EB20280
	s_mul_i32 s60, s87, s71                                    // 000000003330: 923C4757
	v_add_u32_e64 v90, v52, s60                                // 000000003334: D134005A 00007934
	v_mov_b32_e32 v91, 0                                       // 00000000333C: 7EB60280
	s_mul_i32 s60, s88, s71                                    // 000000003340: 923C4758
	v_add_u32_e64 v92, v52, s60                                // 000000003344: D134005C 00007934
	v_mov_b32_e32 v93, 0                                       // 00000000334C: 7EBA0280
	s_mul_i32 s60, s89, s71                                    // 000000003350: 923C4759
	v_add_u32_e64 v94, v52, s60                                // 000000003354: D134005E 00007934
	v_mov_b32_e32 v95, 0                                       // 00000000335C: 7EBE0280
	s_mul_i32 s60, s7, 0x820                                   // 000000003360: 923CFF07 00000820
	s_add_u32 s50, 0, s60                                      // 000000003368: 80323C80
	s_add_u32 s51, 0x2080, s50                                 // 00000000336C: 803332FF 00002080
	v_lshrrev_b32_e32 v52, 4, v0                               // 000000003374: 20680084
	v_lshlrev_b32_e32 v53, 2, v52                              // 000000003378: 246A6882
	v_and_b32_e32 v52, 15, v0                                  // 00000000337C: 2668008F
	v_lshrrev_b32_e32 v54, 2, v52                              // 000000003380: 206C6882
	v_lshlrev_b32_e32 v54, 6, v54                              // 000000003384: 246C6C86
	v_add_u32_e32 v53, v54, v53                                // 000000003388: 686A6B36
	v_and_b32_e32 v52, 3, v0                                   // 00000000338C: 26680083
	v_mul_i32_i24_e32 v54, 0x208, v52                          // 000000003390: 0C6C68FF 00000208
	v_add_u32_e32 v53, v54, v53                                // 000000003398: 686A6B36
	v_lshlrev_b32_e32 v2, 2, v53                               // 00000000339C: 24046A82
	s_mul_i32 s60, s2, 0x1c0                                   // 0000000033A0: 923CFF02 000001C0
	s_mul_i32 s60, s60, s69                                    // 0000000033A8: 923C453C
	s_mul_i32 s61, s5, s72                                     // 0000000033AC: 923D4805
	s_add_u32 s60, s61, s60                                    // 0000000033B0: 803C3C3D
	s_add_u32 s24, s60, s24                                    // 0000000033B4: 8018183C
	s_addc_u32 s25, 0, s25                                     // 0000000033B8: 82191980
	s_mul_i32 s60, s7, 16                                      // 0000000033BC: 923C9007
	s_mul_i32 s60, s60, s69                                    // 0000000033C0: 923C453C
	v_lshlrev_b32_e32 v34, 4, v0                               // 0000000033C4: 24440084
	v_add_u32_e32 v34, s60, v34                                // 0000000033C8: 6844443C
	s_mul_i32 s60, 64, s69                                     // 0000000033CC: 923C45C0
	v_add_u32_e32 v35, s60, v34                                // 0000000033D0: 6846443C
	v_add_u32_e32 v36, s60, v35                                // 0000000033D4: 6848463C
	v_add_u32_e32 v37, s60, v36                                // 0000000033D8: 684A483C
	v_add_u32_e32 v38, s60, v37                                // 0000000033DC: 684C4A3C
	v_add_u32_e32 v39, s60, v38                                // 0000000033E0: 684E4C3C
	v_add_u32_e32 v40, s60, v39                                // 0000000033E4: 68504E3C
	s_mov_b32 s92, s24                                         // 0000000033E8: BEDC0018
	s_mov_b32 s93, s25                                         // 0000000033EC: BEDD0019
	s_mov_b32 s94, s26                                         // 0000000033F0: BEDE001A
	s_mov_b32 s95, s27                                         // 0000000033F4: BEDF001B
	s_mul_i32 s60, s69, s65                                    // 0000000033F8: 923C4145
	s_add_u32 s92, s60, s92                                    // 0000000033FC: 805C5C3C
	s_addc_u32 s93, 0, s93                                     // 000000003400: 825D5D80
	s_mul_i32 s60, s2, 0x1c00                                  // 000000003404: 923CFF02 00001C00
	s_mul_i32 s61, s5, s73                                     // 00000000340C: 923D4905
	s_add_u32 s60, s61, s60                                    // 000000003410: 803C3C3D
	s_add_u32 s12, s60, s12                                    // 000000003414: 800C0C3C
	s_addc_u32 s13, 0, s13                                     // 000000003418: 820D0D80
	s_mul_i32 s60, s7, 16                                      // 00000000341C: 923C9007
	s_mul_i32 s60, s60, s70                                    // 000000003420: 923C463C
	v_lshlrev_b32_e32 v41, 4, v0                               // 000000003424: 24520084
	v_add_u32_e32 v41, s60, v41                                // 000000003428: 6852523C
	s_mul_i32 s60, 64, s70                                     // 00000000342C: 923C46C0
	v_add_u32_e32 v42, s60, v41                                // 000000003430: 6854523C
	v_add_u32_e32 v43, s60, v42                                // 000000003434: 6856543C
	v_add_u32_e32 v44, s60, v43                                // 000000003438: 6858563C
	s_mul_i32 s60, s70, 0x100                                  // 00000000343C: 923CFF46 00000100
	s_mov_b32 s78, 0x400                                       // 000000003444: BECE00FF 00000400
	s_mul_i32 s61, s78, 6                                      // 00000000344C: 923D864E
	s_sub_u32 s56, s60, s61                                    // 000000003450: 80B83D3C
	s_mul_i32 s60, s3, 32                                      // 000000003454: 923CA003
	s_mul_i32 s60, 4, s60                                      // 000000003458: 923C3C84
	s_add_u32 s40, s60, s40                                    // 00000000345C: 8028283C
	s_addc_u32 s41, 0, s41                                     // 000000003460: 82292980
	v_and_b32_e32 v52, 15, v0                                  // 000000003464: 2668008F
	v_lshlrev_b32_e32 v8, 2, v52                               // 000000003468: 24106882
	v_add_u32_e32 v9, 64, v8                                   // 00000000346C: 681210C0
	v_lshrrev_b32_e32 v52, 4, v0                               // 000000003470: 20680084
	v_lshlrev_b32_e32 v53, 2, v52                              // 000000003474: 246A6882
	v_and_b32_e32 v52, 15, v0                                  // 000000003478: 2668008F
	v_lshrrev_b32_e32 v54, 2, v52                              // 00000000347C: 206C6882
	v_lshlrev_b32_e32 v54, 6, v54                              // 000000003480: 246C6C86
	v_add_u32_e32 v53, v54, v53                                // 000000003484: 686A6B36
	v_and_b32_e32 v52, 3, v0                                   // 000000003488: 26680083
	v_add_u32_e32 v53, v52, v53                                // 00000000348C: 686A6B34
	v_lshlrev_b32_e32 v10, 2, v53                              // 000000003490: 24146A82
	v_add_u32_e32 v11, 0x400, v10                              // 000000003494: 681614FF 00000400
	s_mul_i32 s60, s7, 16                                      // 00000000349C: 923C9007
	s_mul_i32 s60, s60, 4                                      // 0000000034A0: 923C843C
	v_add_u32_e32 v10, s60, v10                                // 0000000034A4: 6814143C
	v_add_u32_e32 v11, s60, v11                                // 0000000034A8: 6816163C
	v_mov_b32_e32 v5, v10                                      // 0000000034AC: 7E0A030A
	s_mul_i32 s60, s2, 0x1c0                                   // 0000000034B0: 923CFF02 000001C0
	s_mul_i32 s60, s60, 4                                      // 0000000034B8: 923C843C
	s_mul_i32 s61, s5, s74                                     // 0000000034BC: 923D4A05
	s_add_u32 s61, s61, s60                                    // 0000000034C0: 803D3C3D
	s_mul_i32 s62, s5, s76                                     // 0000000034C4: 923E4C05
	s_add_u32 s62, s62, s60                                    // 0000000034C8: 803E3C3E
	s_add_u32 s32, s61, s32                                    // 0000000034CC: 8020203D
	s_addc_u32 s33, 0, s33                                     // 0000000034D0: 82212180
	s_add_u32 s36, s62, s36                                    // 0000000034D4: 8024243E
	s_addc_u32 s37, 0, s37                                     // 0000000034D8: 82252580
	s_mul_i32 s60, s5, s75                                     // 0000000034DC: 923C4B05
	s_add_u32 s16, s60, s16                                    // 0000000034E0: 8010103C
	s_addc_u32 s17, 0, s17                                     // 0000000034E4: 82111180
	s_mov_b32 s57, 0x100                                       // 0000000034E8: BEB900FF 00000100
	s_mov_b32 s58, 0x1000                                      // 0000000034F0: BEBA00FF 00001000
	s_mov_b32 s79, 0x400                                       // 0000000034F8: BECF00FF 00000400
	s_mov_b32 s59, 0x200                                       // 000000003500: BEBB00FF 00000200
	s_mov_b32 s90, s58                                         // 000000003508: BEDA003A
	s_mov_b32 s52, 0x7060302                                   // 00000000350C: BEB400FF 07060302
	s_mov_b32 s53, 0x400                                       // 000000003514: BEB500FF 00000400
	s_mov_b32 s54, 0x40100                                     // 00000000351C: BEB600FF 00040100
	s_mov_b32 s55, 0x4020100                                   // 000000003524: BEB700FF 04020100
	s_mov_b32 s6, 0x3fb8aa3b                                   // 00000000352C: BE8600FF 3FB8AA3B
	s_mov_b32 s77, 0xbd92220c                                  // 000000003534: BECD00FF BD92220C
	s_mov_b32 m0, s50                                          // 00000000353C: BEFC0032
	v_mov_b32_e32 v1, 0xbfcc4231                               // 000000003540: 7E0202FF BFCC4231
	v_mov_b32_e32 v46, 0xffff0000                              // 000000003548: 7E5C02FF FFFF0000
	v_mov_b32_e32 v47, 0x7fff0000                              // 000000003550: 7E5E02FF 7FFF0000
	v_mov_b32_e32 v48, 0x7fff                                  // 000000003558: 7E6002FF 00007FFF
	s_waitcnt vmcnt(0) expcnt(0) lgkmcnt(0)                    // 000000003560: BF8C0000
	v_and_b32_e32 v6, 0xffffff, v6                             // 000000003564: 260C0CFF 00FFFFFF
	v_and_b32_e32 v7, 0xffffff, v7                             // 00000000356C: 260E0EFF 00FFFFFF
	v_lshlrev_b32_e32 v6, 2, v6                                // 000000003574: 240C0C82
	v_lshlrev_b32_e32 v7, 2, v7                                // 000000003578: 240E0E82
	buffer_load_dword v14, v6, s[28:31], 0 offen               // 00000000357C: E0501000 80070E06
	buffer_load_dword v15, v7, s[28:31], 0 offen               // 000000003584: E0501000 80070F07
	buffer_load_dword v16, v10, s[32:35], 0 offen              // 00000000358C: E0501000 8008100A
	buffer_load_dword v17, v11, s[32:35], 0 offen              // 000000003594: E0501000 8008110B
	s_mul_i32 s60, 4, s65                                      // 00000000359C: 923C4184
	s_add_u32 s32, s60, s32                                    // 0000000035A0: 8020203C
	s_addc_u32 s33, 0, s33                                     // 0000000035A4: 82212180
	buffer_load_dword v49, v10, s[32:35], 0 offen              // 0000000035A8: E0501000 8008310A
	buffer_load_dword v50, v11, s[32:35], 0 offen              // 0000000035B0: E0501000 8008320B
	buffer_load_dword v20, v8, s[40:43], 0 offen               // 0000000035B8: E0501000 800A1408
	buffer_load_dword v21, v9, s[40:43], 0 offen               // 0000000035C0: E0501000 800A1509
	buffer_load_dword v26, s[20:23], 0 offen lds               // 0000000035C8: E0511000 8005001A
	s_add_u32 m0, 0x100, s50                                   // 0000000035D0: 807C32FF 00000100
	buffer_load_dword v27, s[20:23], 0 offen lds               // 0000000035D8: E0511000 8005001B
	s_add_u32 m0, 0x200, s50                                   // 0000000035E0: 807C32FF 00000200
	buffer_load_dword v28, s[20:23], 0 offen lds               // 0000000035E8: E0511000 8005001C
	s_add_u32 m0, 0x300, s50                                   // 0000000035F0: 807C32FF 00000300
	buffer_load_dword v29, s[20:23], 0 offen lds               // 0000000035F8: E0511000 8005001D
	s_add_u32 m0, 0x400, s50                                   // 000000003600: 807C32FF 00000400
	buffer_load_dword v30, s[20:23], 0 offen lds               // 000000003608: E0511000 8005001E
	s_add_u32 m0, 0x500, s50                                   // 000000003610: 807C32FF 00000500
	buffer_load_dword v31, s[20:23], 0 offen lds               // 000000003618: E0511000 8005001F
	s_add_u32 m0, 0x600, s50                                   // 000000003620: 807C32FF 00000600
	buffer_load_dword v32, s[20:23], 0 offen lds               // 000000003628: E0511000 80050020
	s_add_u32 m0, 0x700, s50                                   // 000000003630: 807C32FF 00000700
	buffer_load_dword v33, s[20:23], 0 offen lds               // 000000003638: E0511000 80050021
	s_add_u32 m0, 0, s51                                       // 000000003640: 807C3380
	s_add_u32 s20, s57, s20                                    // 000000003644: 80141439
	s_addc_u32 s21, 0, s21                                     // 000000003648: 82151580
	buffer_load_dwordx4 a[0:3], v34, s[24:27], 0 offen         // 00000000364C: E05C1000 80860022
	buffer_load_dwordx4 a[4:7], v34, s[24:27], 0 offen offset:1024// 000000003654: E05C1400 80860422
	buffer_load_dwordx4 a[8:11], v34, s[24:27], 0 offen offset:2048// 00000000365C: E05C1800 80860822
	buffer_load_dwordx4 a[12:15], v34, s[24:27], 0 offen offset:3072// 000000003664: E05C1C00 80860C22
	buffer_load_dwordx4 a[16:19], v35, s[24:27], 0 offen       // 00000000366C: E05C1000 80861023
	buffer_load_dwordx4 a[20:23], v35, s[24:27], 0 offen offset:1024// 000000003674: E05C1400 80861423
	buffer_load_dwordx4 a[24:27], v35, s[24:27], 0 offen offset:2048// 00000000367C: E05C1800 80861823
	buffer_load_dwordx4 a[28:31], v35, s[24:27], 0 offen offset:3072// 000000003684: E05C1C00 80861C23
	buffer_load_dwordx4 a[32:35], v36, s[24:27], 0 offen       // 00000000368C: E05C1000 80862024
	buffer_load_dwordx4 a[36:39], v36, s[24:27], 0 offen offset:1024// 000000003694: E05C1400 80862424
	buffer_load_dwordx4 a[40:43], v36, s[24:27], 0 offen offset:2048// 00000000369C: E05C1800 80862824
	buffer_load_dwordx4 a[44:47], v36, s[24:27], 0 offen offset:3072// 0000000036A4: E05C1C00 80862C24
	buffer_load_dwordx4 a[48:51], v37, s[24:27], 0 offen       // 0000000036AC: E05C1000 80863025
	buffer_load_dwordx4 a[52:55], v37, s[24:27], 0 offen offset:1024// 0000000036B4: E05C1400 80863425
	buffer_load_dwordx4 a[56:59], v37, s[24:27], 0 offen offset:2048// 0000000036BC: E05C1800 80863825
	buffer_load_dwordx4 a[60:63], v37, s[24:27], 0 offen offset:3072// 0000000036C4: E05C1C00 80863C25
	buffer_load_dwordx4 a[64:67], v38, s[24:27], 0 offen       // 0000000036CC: E05C1000 80864026
	buffer_load_dwordx4 a[68:71], v38, s[24:27], 0 offen offset:1024// 0000000036D4: E05C1400 80864426
	buffer_load_dwordx4 a[72:75], v38, s[24:27], 0 offen offset:2048// 0000000036DC: E05C1800 80864826
	buffer_load_dwordx4 a[76:79], v38, s[24:27], 0 offen offset:3072// 0000000036E4: E05C1C00 80864C26
	buffer_load_dwordx4 a[80:83], v39, s[24:27], 0 offen       // 0000000036EC: E05C1000 80865027
	buffer_load_dwordx4 a[84:87], v39, s[24:27], 0 offen offset:1024// 0000000036F4: E05C1400 80865427
	buffer_load_dwordx4 a[88:91], v39, s[24:27], 0 offen offset:2048// 0000000036FC: E05C1800 80865827
	buffer_load_dwordx4 a[92:95], v39, s[24:27], 0 offen offset:3072// 000000003704: E05C1C00 80865C27
	buffer_load_dwordx4 a[96:99], v40, s[24:27], 0 offen       // 00000000370C: E05C1000 80866028
	buffer_load_dwordx4 a[100:103], v40, s[24:27], 0 offen offset:1024// 000000003714: E05C1400 80866428
	buffer_load_dwordx4 a[104:107], v40, s[24:27], 0 offen offset:2048// 00000000371C: E05C1800 80866828
	buffer_load_dwordx4 a[108:111], v40, s[24:27], 0 offen offset:3072// 000000003724: E05C1C00 80866C28
	s_add_u32 s24, s58, s24                                    // 00000000372C: 8018183A
	s_addc_u32 s25, 0, s25                                     // 000000003730: 82191980
	v_mov_b32_e32 v128, 0                                      // 000000003734: 7F000280
	v_mov_b32_e32 v64, 0                                       // 000000003738: 7E800280
	v_mov_b32_e32 v129, 0                                      // 00000000373C: 7F020280
	v_mov_b32_e32 v65, 0                                       // 000000003740: 7E820280
	v_mov_b32_e32 v130, 0                                      // 000000003744: 7F040280
	v_mov_b32_e32 v66, 0                                       // 000000003748: 7E840280
	v_mov_b32_e32 v131, 0                                      // 00000000374C: 7F060280
	v_mov_b32_e32 v67, 0                                       // 000000003750: 7E860280
	v_mov_b32_e32 v132, 0                                      // 000000003754: 7F080280
	v_mov_b32_e32 v68, 0                                       // 000000003758: 7E880280
	v_mov_b32_e32 v133, 0                                      // 00000000375C: 7F0A0280
	v_mov_b32_e32 v69, 0                                       // 000000003760: 7E8A0280
	v_mov_b32_e32 v134, 0                                      // 000000003764: 7F0C0280
	v_mov_b32_e32 v70, 0                                       // 000000003768: 7E8C0280
	v_mov_b32_e32 v135, 0                                      // 00000000376C: 7F0E0280
	v_mov_b32_e32 v71, 0                                       // 000000003770: 7E8E0280
	v_mov_b32_e32 v136, 0                                      // 000000003774: 7F100280
	v_mov_b32_e32 v72, 0                                       // 000000003778: 7E900280
	v_mov_b32_e32 v137, 0                                      // 00000000377C: 7F120280
	v_mov_b32_e32 v73, 0                                       // 000000003780: 7E920280
	v_mov_b32_e32 v138, 0                                      // 000000003784: 7F140280
	v_mov_b32_e32 v74, 0                                       // 000000003788: 7E940280
	v_mov_b32_e32 v139, 0                                      // 00000000378C: 7F160280
	v_mov_b32_e32 v75, 0                                       // 000000003790: 7E960280
	v_mov_b32_e32 v140, 0                                      // 000000003794: 7F180280
	v_mov_b32_e32 v76, 0                                       // 000000003798: 7E980280
	v_mov_b32_e32 v141, 0                                      // 00000000379C: 7F1A0280
	v_mov_b32_e32 v77, 0                                       // 0000000037A0: 7E9A0280
	v_mov_b32_e32 v142, 0                                      // 0000000037A4: 7F1C0280
	v_mov_b32_e32 v78, 0                                       // 0000000037A8: 7E9C0280
	v_mov_b32_e32 v143, 0                                      // 0000000037AC: 7F1E0280
	v_mov_b32_e32 v79, 0                                       // 0000000037B0: 7E9E0280
	v_mov_b32_e32 v144, 0                                      // 0000000037B4: 7F200280
	v_mov_b32_e32 v80, 0                                       // 0000000037B8: 7EA00280
	v_mov_b32_e32 v145, 0                                      // 0000000037BC: 7F220280
	v_mov_b32_e32 v81, 0                                       // 0000000037C0: 7EA20280
	v_mov_b32_e32 v146, 0                                      // 0000000037C4: 7F240280
	v_mov_b32_e32 v82, 0                                       // 0000000037C8: 7EA40280
	v_mov_b32_e32 v147, 0                                      // 0000000037CC: 7F260280
	v_mov_b32_e32 v83, 0                                       // 0000000037D0: 7EA60280
	v_mov_b32_e32 v148, 0                                      // 0000000037D4: 7F280280
	v_mov_b32_e32 v84, 0                                       // 0000000037D8: 7EA80280
	v_mov_b32_e32 v149, 0                                      // 0000000037DC: 7F2A0280
	v_mov_b32_e32 v85, 0                                       // 0000000037E0: 7EAA0280
	v_mov_b32_e32 v150, 0                                      // 0000000037E4: 7F2C0280
	v_mov_b32_e32 v86, 0                                       // 0000000037E8: 7EAC0280
	v_mov_b32_e32 v151, 0                                      // 0000000037EC: 7F2E0280
	v_mov_b32_e32 v87, 0                                       // 0000000037F0: 7EAE0280
	v_mov_b32_e32 v152, 0                                      // 0000000037F4: 7F300280
	v_mov_b32_e32 v88, 0                                       // 0000000037F8: 7EB00280
	v_mov_b32_e32 v153, 0                                      // 0000000037FC: 7F320280
	v_mov_b32_e32 v89, 0                                       // 000000003800: 7EB20280
	v_mov_b32_e32 v154, 0                                      // 000000003804: 7F340280
	v_mov_b32_e32 v90, 0                                       // 000000003808: 7EB40280
	v_mov_b32_e32 v155, 0                                      // 00000000380C: 7F360280
	v_mov_b32_e32 v91, 0                                       // 000000003810: 7EB60280
	v_mov_b32_e32 v156, 0                                      // 000000003814: 7F380280
	v_mov_b32_e32 v92, 0                                       // 000000003818: 7EB80280
	v_mov_b32_e32 v157, 0                                      // 00000000381C: 7F3A0280
	v_mov_b32_e32 v93, 0                                       // 000000003820: 7EBA0280
	v_mov_b32_e32 v158, 0                                      // 000000003824: 7F3C0280
	v_mov_b32_e32 v94, 0                                       // 000000003828: 7EBC0280
	v_mov_b32_e32 v159, 0                                      // 00000000382C: 7F3E0280
	v_mov_b32_e32 v95, 0                                       // 000000003830: 7EBE0280
	v_mov_b32_e32 v160, 0                                      // 000000003834: 7F400280
	v_mov_b32_e32 v96, 0                                       // 000000003838: 7EC00280
	v_mov_b32_e32 v161, 0                                      // 00000000383C: 7F420280
	v_mov_b32_e32 v97, 0                                       // 000000003840: 7EC20280
	v_mov_b32_e32 v162, 0                                      // 000000003844: 7F440280
	v_mov_b32_e32 v98, 0                                       // 000000003848: 7EC40280
	v_mov_b32_e32 v163, 0                                      // 00000000384C: 7F460280
	v_mov_b32_e32 v99, 0                                       // 000000003850: 7EC60280
	v_mov_b32_e32 v164, 0                                      // 000000003854: 7F480280
	v_mov_b32_e32 v100, 0                                      // 000000003858: 7EC80280
	v_mov_b32_e32 v165, 0                                      // 00000000385C: 7F4A0280
	v_mov_b32_e32 v101, 0                                      // 000000003860: 7ECA0280
	v_mov_b32_e32 v166, 0                                      // 000000003864: 7F4C0280
	v_mov_b32_e32 v102, 0                                      // 000000003868: 7ECC0280
	v_mov_b32_e32 v167, 0                                      // 00000000386C: 7F4E0280
	v_mov_b32_e32 v103, 0                                      // 000000003870: 7ECE0280
	v_mov_b32_e32 v168, 0                                      // 000000003874: 7F500280
	v_mov_b32_e32 v104, 0                                      // 000000003878: 7ED00280
	v_mov_b32_e32 v169, 0                                      // 00000000387C: 7F520280
	v_mov_b32_e32 v105, 0                                      // 000000003880: 7ED20280
	v_mov_b32_e32 v170, 0                                      // 000000003884: 7F540280
	v_mov_b32_e32 v106, 0                                      // 000000003888: 7ED40280
	v_mov_b32_e32 v171, 0                                      // 00000000388C: 7F560280
	v_mov_b32_e32 v107, 0                                      // 000000003890: 7ED60280
	v_mov_b32_e32 v172, 0                                      // 000000003894: 7F580280
	v_mov_b32_e32 v108, 0                                      // 000000003898: 7ED80280
	v_mov_b32_e32 v173, 0                                      // 00000000389C: 7F5A0280
	v_mov_b32_e32 v109, 0                                      // 0000000038A0: 7EDA0280
	v_mov_b32_e32 v174, 0                                      // 0000000038A4: 7F5C0280
	v_mov_b32_e32 v110, 0                                      // 0000000038A8: 7EDC0280
	v_mov_b32_e32 v175, 0                                      // 0000000038AC: 7F5E0280
	v_mov_b32_e32 v111, 0                                      // 0000000038B0: 7EDE0280
	v_mov_b32_e32 v176, 0                                      // 0000000038B4: 7F600280
	v_mov_b32_e32 v112, 0                                      // 0000000038B8: 7EE00280
	v_mov_b32_e32 v177, 0                                      // 0000000038BC: 7F620280
	v_mov_b32_e32 v113, 0                                      // 0000000038C0: 7EE20280
	v_mov_b32_e32 v178, 0                                      // 0000000038C4: 7F640280
	v_mov_b32_e32 v114, 0                                      // 0000000038C8: 7EE40280
	v_mov_b32_e32 v179, 0                                      // 0000000038CC: 7F660280
	v_mov_b32_e32 v115, 0                                      // 0000000038D0: 7EE60280
	v_mov_b32_e32 v180, 0                                      // 0000000038D4: 7F680280
	v_mov_b32_e32 v116, 0                                      // 0000000038D8: 7EE80280
	v_mov_b32_e32 v181, 0                                      // 0000000038DC: 7F6A0280
	v_mov_b32_e32 v117, 0                                      // 0000000038E0: 7EEA0280
	v_mov_b32_e32 v182, 0                                      // 0000000038E4: 7F6C0280
	v_mov_b32_e32 v118, 0                                      // 0000000038E8: 7EEC0280
	v_mov_b32_e32 v183, 0                                      // 0000000038EC: 7F6E0280
	v_mov_b32_e32 v119, 0                                      // 0000000038F0: 7EEE0280
	v_lshrrev_b32_e32 v52, 4, v0                               // 0000000038F4: 20680084
	v_mul_i32_i24_e32 v3, 34, v52                              // 0000000038F8: 0C0668A2
	v_and_b32_e32 v52, 15, v0                                  // 0000000038FC: 2668008F
	v_mul_i32_i24_e32 v53, 2, v52                              // 000000003900: 0C6A6882
	v_add_u32_e32 v3, v53, v3                                  // 000000003904: 68060735
	s_mul_i32 s60, s7, 0x88                                    // 000000003908: 923CFF07 00000088
	v_add_u32_e32 v3, s60, v3                                  // 000000003910: 6806063C
	v_lshlrev_b32_e32 v3, 2, v3                                // 000000003914: 24060682
	v_lshrrev_b32_e32 v52, 1, v0                               // 000000003918: 20680081
	v_mul_i32_i24_e32 v4, 34, v52                              // 00000000391C: 0C0868A2
	v_and_b32_e32 v53, 1, v0                                   // 000000003920: 266A0081
	v_add_u32_e32 v4, v53, v4                                  // 000000003924: 68080935
	s_mul_i32 s60, s7, 2                                       // 000000003928: 923C8207
	v_add_u32_e32 v4, s60, v4                                  // 00000000392C: 6808083C
	v_lshlrev_b32_e32 v4, 2, v4                                // 000000003930: 24080882
	s_waitcnt vmcnt(28)                                        // 000000003934: BF8C4F7C
	s_barrier                                                  // 000000003938: BF8A0000
	ds_read_b128 v[184:187], v2                                // 00000000393C: D9FE0000 B8000002
	ds_read_b128 v[188:191], v2 offset:64                      // 000000003944: D9FE0040 BC000002
	ds_read_b128 v[192:195], v2 offset:128                     // 00000000394C: D9FE0080 C0000002
	ds_read_b128 v[196:199], v2 offset:192                     // 000000003954: D9FE00C0 C4000002
	ds_read_b128 v[200:203], v2 offset:1024                    // 00000000395C: D9FE0400 C8000002
	ds_read_b128 v[204:207], v2 offset:1088                    // 000000003964: D9FE0440 CC000002
	ds_read_b128 v[208:211], v2 offset:1152                    // 00000000396C: D9FE0480 D0000002
	ds_read_b128 v[212:215], v2 offset:1216                    // 000000003974: D9FE04C0 D4000002
	s_cmp_lt_i32 s7, 2                                         // 00000000397C: BF048207
	s_cbranch_scc0 label_1411                                  // 000000003980: BF841130

0000000000003984 <label_02E1>:
	s_waitcnt vmcnt(20) lgkmcnt(0)                             // 000000003984: BF8C4074
	s_barrier                                                  // 000000003988: BF8A0000
	v_mfma_f32_16x16x32_fp8_fp8 v[128:131], a[0:1], v[184:185], v[128:131]// 00000000398C: D3F30080 0E037100
	v_mfma_f32_16x16x32_fp8_fp8 v[128:131], a[2:3], v[186:187], v[128:131]// 000000003994: D3F30080 0E037502
	buffer_load_dwordx4 a[112:115], v34, s[92:95], 0 offen     // 00000000399C: E05C1000 80977022
	v_mfma_f32_16x16x32_fp8_fp8 v[128:131], a[4:5], v[188:189], v[128:131]// 0000000039A4: D3F30080 0E037904
	v_mfma_f32_16x16x32_fp8_fp8 v[128:131], a[6:7], v[190:191], v[128:131]// 0000000039AC: D3F30080 0E037D06
	buffer_load_dword v26, s[20:23], 0 offen lds               // 0000000039B4: E0511000 8005001A
	s_add_u32 m0, 0x100, s51                                   // 0000000039BC: 807C33FF 00000100
	v_mfma_f32_16x16x32_fp8_fp8 v[128:131], a[8:9], v[192:193], v[128:131]// 0000000039C4: D3F30080 0E038108
	v_mfma_f32_16x16x32_fp8_fp8 v[128:131], a[10:11], v[194:195], v[128:131]// 0000000039CC: D3F30080 0E03850A
	buffer_load_dwordx4 a[116:119], v34, s[92:95], 0 offen offset:1024// 0000000039D4: E05C1400 80977422
	v_mfma_f32_16x16x32_fp8_fp8 v[128:131], a[12:13], v[196:197], v[128:131]// 0000000039DC: D3F30080 0E03890C
	v_mfma_f32_16x16x32_fp8_fp8 v[128:131], a[14:15], v[198:199], v[128:131]// 0000000039E4: D3F30080 0E038D0E
	buffer_load_dword v27, s[20:23], 0 offen lds               // 0000000039EC: E0511000 8005001B
	s_add_u32 m0, 0x200, s51                                   // 0000000039F4: 807C33FF 00000200
	v_mfma_f32_16x16x32_fp8_fp8 v[132:135], a[0:1], v[200:201], v[132:135]// 0000000039FC: D3F30084 0E139100
	v_mfma_f32_16x16x32_fp8_fp8 v[132:135], a[2:3], v[202:203], v[132:135]// 000000003A04: D3F30084 0E139502
	buffer_load_dwordx4 a[120:123], v34, s[92:95], 0 offen offset:2048// 000000003A0C: E05C1800 80977822
	v_mfma_f32_16x16x32_fp8_fp8 v[132:135], a[4:5], v[204:205], v[132:135]// 000000003A14: D3F30084 0E139904
	v_mfma_f32_16x16x32_fp8_fp8 v[132:135], a[6:7], v[206:207], v[132:135]// 000000003A1C: D3F30084 0E139D06
	buffer_load_dword v28, s[20:23], 0 offen lds               // 000000003A24: E0511000 8005001C
	s_add_u32 m0, 0x300, s51                                   // 000000003A2C: 807C33FF 00000300
	v_mfma_f32_16x16x32_fp8_fp8 v[132:135], a[8:9], v[208:209], v[132:135]// 000000003A34: D3F30084 0E13A108
	v_mfma_f32_16x16x32_fp8_fp8 v[132:135], a[10:11], v[210:211], v[132:135]// 000000003A3C: D3F30084 0E13A50A
	buffer_load_dwordx4 a[124:127], v34, s[92:95], 0 offen offset:3072// 000000003A44: E05C1C00 80977C22
	v_mfma_f32_16x16x32_fp8_fp8 v[132:135], a[12:13], v[212:213], v[132:135]// 000000003A4C: D3F30084 0E13A90C
	v_mfma_f32_16x16x32_fp8_fp8 v[132:135], a[14:15], v[214:215], v[132:135]// 000000003A54: D3F30084 0E13AD0E
	buffer_load_dword v29, s[20:23], 0 offen lds               // 000000003A5C: E0511000 8005001D
	s_add_u32 m0, 0x400, s51                                   // 000000003A64: 807C33FF 00000400
	v_mfma_f32_16x16x32_fp8_fp8 v[136:139], a[16:17], v[184:185], v[136:139]// 000000003A6C: D3F30088 0E237110
	v_mfma_f32_16x16x32_fp8_fp8 v[136:139], a[18:19], v[186:187], v[136:139]// 000000003A74: D3F30088 0E237512
	buffer_load_dwordx4 a[128:131], v35, s[92:95], 0 offen     // 000000003A7C: E05C1000 80978023
	v_mfma_f32_16x16x32_fp8_fp8 v[136:139], a[20:21], v[188:189], v[136:139]// 000000003A84: D3F30088 0E237914
	v_mfma_f32_16x16x32_fp8_fp8 v[136:139], a[22:23], v[190:191], v[136:139]// 000000003A8C: D3F30088 0E237D16
	buffer_load_dword v30, s[20:23], 0 offen lds               // 000000003A94: E0511000 8005001E
	s_add_u32 m0, 0x500, s51                                   // 000000003A9C: 807C33FF 00000500
	v_mfma_f32_16x16x32_fp8_fp8 v[136:139], a[24:25], v[192:193], v[136:139]// 000000003AA4: D3F30088 0E238118
	v_mfma_f32_16x16x32_fp8_fp8 v[136:139], a[26:27], v[194:195], v[136:139]// 000000003AAC: D3F30088 0E23851A
	buffer_load_dwordx4 a[132:135], v35, s[92:95], 0 offen offset:1024// 000000003AB4: E05C1400 80978423
	v_mfma_f32_16x16x32_fp8_fp8 v[136:139], a[28:29], v[196:197], v[136:139]// 000000003ABC: D3F30088 0E23891C
	v_mfma_f32_16x16x32_fp8_fp8 v[136:139], a[30:31], v[198:199], v[136:139]// 000000003AC4: D3F30088 0E238D1E
	buffer_load_dword v31, s[20:23], 0 offen lds               // 000000003ACC: E0511000 8005001F
	s_add_u32 m0, 0x600, s51                                   // 000000003AD4: 807C33FF 00000600
	v_mfma_f32_16x16x32_fp8_fp8 v[140:143], a[16:17], v[200:201], v[140:143]// 000000003ADC: D3F3008C 0E339110
	v_mfma_f32_16x16x32_fp8_fp8 v[140:143], a[18:19], v[202:203], v[140:143]// 000000003AE4: D3F3008C 0E339512
	buffer_load_dwordx4 a[136:139], v35, s[92:95], 0 offen offset:2048// 000000003AEC: E05C1800 80978823
	v_mfma_f32_16x16x32_fp8_fp8 v[140:143], a[20:21], v[204:205], v[140:143]// 000000003AF4: D3F3008C 0E339914
	v_mfma_f32_16x16x32_fp8_fp8 v[140:143], a[22:23], v[206:207], v[140:143]// 000000003AFC: D3F3008C 0E339D16
	buffer_load_dword v32, s[20:23], 0 offen lds               // 000000003B04: E0511000 80050020
	s_add_u32 m0, 0x700, s51                                   // 000000003B0C: 807C33FF 00000700
	v_mfma_f32_16x16x32_fp8_fp8 v[140:143], a[24:25], v[208:209], v[140:143]// 000000003B14: D3F3008C 0E33A118
	v_mfma_f32_16x16x32_fp8_fp8 v[140:143], a[26:27], v[210:211], v[140:143]// 000000003B1C: D3F3008C 0E33A51A
	buffer_load_dwordx4 a[140:143], v35, s[92:95], 0 offen offset:3072// 000000003B24: E05C1C00 80978C23
	v_mfma_f32_16x16x32_fp8_fp8 v[140:143], a[28:29], v[212:213], v[140:143]// 000000003B2C: D3F3008C 0E33A91C
	v_mfma_f32_16x16x32_fp8_fp8 v[140:143], a[30:31], v[214:215], v[140:143]// 000000003B34: D3F3008C 0E33AD1E
	buffer_load_dword v33, s[20:23], 0 offen lds               // 000000003B3C: E0511000 80050021
	s_add_u32 m0, 0, s50                                       // 000000003B44: 807C3280
	s_waitcnt vmcnt(32)                                        // 000000003B48: BF8C8F70
	v_mfma_f32_16x16x32_fp8_fp8 v[144:147], a[32:33], v[184:185], v[144:147]// 000000003B4C: D3F30090 0E437120
	v_mfma_f32_16x16x32_fp8_fp8 v[144:147], a[34:35], v[186:187], v[144:147]// 000000003B54: D3F30090 0E437522
	buffer_load_dwordx4 a[144:147], v36, s[92:95], 0 offen     // 000000003B5C: E05C1000 80979024
	v_mfma_f32_16x16x32_fp8_fp8 v[144:147], a[36:37], v[188:189], v[144:147]// 000000003B64: D3F30090 0E437924
	v_mfma_f32_16x16x32_fp8_fp8 v[144:147], a[38:39], v[190:191], v[144:147]// 000000003B6C: D3F30090 0E437D26
	v_mfma_f32_16x16x32_fp8_fp8 v[144:147], a[40:41], v[192:193], v[144:147]// 000000003B74: D3F30090 0E438128
	v_mfma_f32_16x16x32_fp8_fp8 v[144:147], a[42:43], v[194:195], v[144:147]// 000000003B7C: D3F30090 0E43852A
	buffer_load_dwordx4 a[148:151], v36, s[92:95], 0 offen offset:1024// 000000003B84: E05C1400 80979424
	v_mfma_f32_16x16x32_fp8_fp8 v[144:147], a[44:45], v[196:197], v[144:147]// 000000003B8C: D3F30090 0E43892C
	v_mfma_f32_16x16x32_fp8_fp8 v[144:147], a[46:47], v[198:199], v[144:147]// 000000003B94: D3F30090 0E438D2E
	v_mfma_f32_16x16x32_fp8_fp8 v[148:151], a[32:33], v[200:201], v[148:151]// 000000003B9C: D3F30094 0E539120
	v_mfma_f32_16x16x32_fp8_fp8 v[148:151], a[34:35], v[202:203], v[148:151]// 000000003BA4: D3F30094 0E539522
	buffer_load_dwordx4 a[152:155], v36, s[92:95], 0 offen offset:2048// 000000003BAC: E05C1800 80979824
	v_mfma_f32_16x16x32_fp8_fp8 v[148:151], a[36:37], v[204:205], v[148:151]// 000000003BB4: D3F30094 0E539924
	v_mfma_f32_16x16x32_fp8_fp8 v[148:151], a[38:39], v[206:207], v[148:151]// 000000003BBC: D3F30094 0E539D26
	v_mfma_f32_16x16x32_fp8_fp8 v[148:151], a[40:41], v[208:209], v[148:151]// 000000003BC4: D3F30094 0E53A128
	v_mfma_f32_16x16x32_fp8_fp8 v[148:151], a[42:43], v[210:211], v[148:151]// 000000003BCC: D3F30094 0E53A52A
	buffer_load_dwordx4 a[156:159], v36, s[92:95], 0 offen offset:3072// 000000003BD4: E05C1C00 80979C24
	v_mfma_f32_16x16x32_fp8_fp8 v[148:151], a[44:45], v[212:213], v[148:151]// 000000003BDC: D3F30094 0E53A92C
	v_mfma_f32_16x16x32_fp8_fp8 v[148:151], a[46:47], v[214:215], v[148:151]// 000000003BE4: D3F30094 0E53AD2E
	s_waitcnt vmcnt(32)                                        // 000000003BEC: BF8C8F70
	v_mfma_f32_16x16x32_fp8_fp8 v[152:155], a[48:49], v[184:185], v[152:155]// 000000003BF0: D3F30098 0E637130
	v_mfma_f32_16x16x32_fp8_fp8 v[152:155], a[50:51], v[186:187], v[152:155]// 000000003BF8: D3F30098 0E637532
	buffer_load_dwordx4 a[160:163], v37, s[92:95], 0 offen     // 000000003C00: E05C1000 8097A025
	v_mfma_f32_16x16x32_fp8_fp8 v[152:155], a[52:53], v[188:189], v[152:155]// 000000003C08: D3F30098 0E637934
	v_mfma_f32_16x16x32_fp8_fp8 v[152:155], a[54:55], v[190:191], v[152:155]// 000000003C10: D3F30098 0E637D36
	v_mfma_f32_16x16x32_fp8_fp8 v[152:155], a[56:57], v[192:193], v[152:155]// 000000003C18: D3F30098 0E638138
	v_mfma_f32_16x16x32_fp8_fp8 v[152:155], a[58:59], v[194:195], v[152:155]// 000000003C20: D3F30098 0E63853A
	buffer_load_dwordx4 a[164:167], v37, s[92:95], 0 offen offset:1024// 000000003C28: E05C1400 8097A425
	v_mfma_f32_16x16x32_fp8_fp8 v[152:155], a[60:61], v[196:197], v[152:155]// 000000003C30: D3F30098 0E63893C
	v_mfma_f32_16x16x32_fp8_fp8 v[152:155], a[62:63], v[198:199], v[152:155]// 000000003C38: D3F30098 0E638D3E
	v_mfma_f32_16x16x32_fp8_fp8 v[156:159], a[48:49], v[200:201], v[156:159]// 000000003C40: D3F3009C 0E739130
	v_mfma_f32_16x16x32_fp8_fp8 v[156:159], a[50:51], v[202:203], v[156:159]// 000000003C48: D3F3009C 0E739532
	buffer_load_dwordx4 a[168:171], v37, s[92:95], 0 offen offset:2048// 000000003C50: E05C1800 8097A825
	v_mfma_f32_16x16x32_fp8_fp8 v[156:159], a[52:53], v[204:205], v[156:159]// 000000003C58: D3F3009C 0E739934
	v_mfma_f32_16x16x32_fp8_fp8 v[156:159], a[54:55], v[206:207], v[156:159]// 000000003C60: D3F3009C 0E739D36
	v_mfma_f32_16x16x32_fp8_fp8 v[156:159], a[56:57], v[208:209], v[156:159]// 000000003C68: D3F3009C 0E73A138
	v_mfma_f32_16x16x32_fp8_fp8 v[156:159], a[58:59], v[210:211], v[156:159]// 000000003C70: D3F3009C 0E73A53A
	buffer_load_dwordx4 a[172:175], v37, s[92:95], 0 offen offset:3072// 000000003C78: E05C1C00 8097AC25
	v_mfma_f32_16x16x32_fp8_fp8 v[156:159], a[60:61], v[212:213], v[156:159]// 000000003C80: D3F3009C 0E73A93C
	v_mfma_f32_16x16x32_fp8_fp8 v[156:159], a[62:63], v[214:215], v[156:159]// 000000003C88: D3F3009C 0E73AD3E
	s_waitcnt vmcnt(32)                                        // 000000003C90: BF8C8F70
	v_mfma_f32_16x16x32_fp8_fp8 v[160:163], a[64:65], v[184:185], v[160:163]// 000000003C94: D3F300A0 0E837140
	v_mfma_f32_16x16x32_fp8_fp8 v[160:163], a[66:67], v[186:187], v[160:163]// 000000003C9C: D3F300A0 0E837542
	buffer_load_dwordx4 a[176:179], v38, s[92:95], 0 offen     // 000000003CA4: E05C1000 8097B026
	v_mfma_f32_16x16x32_fp8_fp8 v[160:163], a[68:69], v[188:189], v[160:163]// 000000003CAC: D3F300A0 0E837944
	v_mfma_f32_16x16x32_fp8_fp8 v[160:163], a[70:71], v[190:191], v[160:163]// 000000003CB4: D3F300A0 0E837D46
	v_mfma_f32_16x16x32_fp8_fp8 v[160:163], a[72:73], v[192:193], v[160:163]// 000000003CBC: D3F300A0 0E838148
	v_mfma_f32_16x16x32_fp8_fp8 v[160:163], a[74:75], v[194:195], v[160:163]// 000000003CC4: D3F300A0 0E83854A
	buffer_load_dwordx4 a[180:183], v38, s[92:95], 0 offen offset:1024// 000000003CCC: E05C1400 8097B426
	v_mfma_f32_16x16x32_fp8_fp8 v[160:163], a[76:77], v[196:197], v[160:163]// 000000003CD4: D3F300A0 0E83894C
	v_mfma_f32_16x16x32_fp8_fp8 v[160:163], a[78:79], v[198:199], v[160:163]// 000000003CDC: D3F300A0 0E838D4E
	v_mfma_f32_16x16x32_fp8_fp8 v[164:167], a[64:65], v[200:201], v[164:167]// 000000003CE4: D3F300A4 0E939140
	v_mfma_f32_16x16x32_fp8_fp8 v[164:167], a[66:67], v[202:203], v[164:167]// 000000003CEC: D3F300A4 0E939542
	buffer_load_dwordx4 a[184:187], v38, s[92:95], 0 offen offset:2048// 000000003CF4: E05C1800 8097B826
	v_mfma_f32_16x16x32_fp8_fp8 v[164:167], a[68:69], v[204:205], v[164:167]// 000000003CFC: D3F300A4 0E939944
	v_mfma_f32_16x16x32_fp8_fp8 v[164:167], a[70:71], v[206:207], v[164:167]// 000000003D04: D3F300A4 0E939D46
	v_mfma_f32_16x16x32_fp8_fp8 v[164:167], a[72:73], v[208:209], v[164:167]// 000000003D0C: D3F300A4 0E93A148
	v_mfma_f32_16x16x32_fp8_fp8 v[164:167], a[74:75], v[210:211], v[164:167]// 000000003D14: D3F300A4 0E93A54A
	buffer_load_dwordx4 a[188:191], v38, s[92:95], 0 offen offset:3072// 000000003D1C: E05C1C00 8097BC26
	v_mfma_f32_16x16x32_fp8_fp8 v[164:167], a[76:77], v[212:213], v[164:167]// 000000003D24: D3F300A4 0E93A94C
	v_mfma_f32_16x16x32_fp8_fp8 v[164:167], a[78:79], v[214:215], v[164:167]// 000000003D2C: D3F300A4 0E93AD4E
	s_waitcnt vmcnt(32)                                        // 000000003D34: BF8C8F70
	v_mfma_f32_16x16x32_fp8_fp8 v[168:171], a[80:81], v[184:185], v[168:171]// 000000003D38: D3F300A8 0EA37150
	v_mfma_f32_16x16x32_fp8_fp8 v[168:171], a[82:83], v[186:187], v[168:171]// 000000003D40: D3F300A8 0EA37552
	buffer_load_dwordx4 a[192:195], v39, s[92:95], 0 offen     // 000000003D48: E05C1000 8097C027
	v_mfma_f32_16x16x32_fp8_fp8 v[168:171], a[84:85], v[188:189], v[168:171]// 000000003D50: D3F300A8 0EA37954
	v_mfma_f32_16x16x32_fp8_fp8 v[168:171], a[86:87], v[190:191], v[168:171]// 000000003D58: D3F300A8 0EA37D56
	v_mfma_f32_16x16x32_fp8_fp8 v[168:171], a[88:89], v[192:193], v[168:171]// 000000003D60: D3F300A8 0EA38158
	v_mfma_f32_16x16x32_fp8_fp8 v[168:171], a[90:91], v[194:195], v[168:171]// 000000003D68: D3F300A8 0EA3855A
	buffer_load_dwordx4 a[196:199], v39, s[92:95], 0 offen offset:1024// 000000003D70: E05C1400 8097C427
	v_mfma_f32_16x16x32_fp8_fp8 v[168:171], a[92:93], v[196:197], v[168:171]// 000000003D78: D3F300A8 0EA3895C
	v_mfma_f32_16x16x32_fp8_fp8 v[168:171], a[94:95], v[198:199], v[168:171]// 000000003D80: D3F300A8 0EA38D5E
	v_mfma_f32_16x16x32_fp8_fp8 v[172:175], a[80:81], v[200:201], v[172:175]// 000000003D88: D3F300AC 0EB39150
	v_mfma_f32_16x16x32_fp8_fp8 v[172:175], a[82:83], v[202:203], v[172:175]// 000000003D90: D3F300AC 0EB39552
	buffer_load_dwordx4 a[200:203], v39, s[92:95], 0 offen offset:2048// 000000003D98: E05C1800 8097C827
	v_mfma_f32_16x16x32_fp8_fp8 v[172:175], a[84:85], v[204:205], v[172:175]// 000000003DA0: D3F300AC 0EB39954
	v_mfma_f32_16x16x32_fp8_fp8 v[172:175], a[86:87], v[206:207], v[172:175]// 000000003DA8: D3F300AC 0EB39D56
	v_mfma_f32_16x16x32_fp8_fp8 v[172:175], a[88:89], v[208:209], v[172:175]// 000000003DB0: D3F300AC 0EB3A158
	v_mfma_f32_16x16x32_fp8_fp8 v[172:175], a[90:91], v[210:211], v[172:175]// 000000003DB8: D3F300AC 0EB3A55A
	buffer_load_dwordx4 a[204:207], v39, s[92:95], 0 offen offset:3072// 000000003DC0: E05C1C00 8097CC27
	v_mfma_f32_16x16x32_fp8_fp8 v[172:175], a[92:93], v[212:213], v[172:175]// 000000003DC8: D3F300AC 0EB3A95C
	v_mfma_f32_16x16x32_fp8_fp8 v[172:175], a[94:95], v[214:215], v[172:175]// 000000003DD0: D3F300AC 0EB3AD5E
	s_waitcnt vmcnt(32)                                        // 000000003DD8: BF8C8F70
	v_mfma_f32_16x16x32_fp8_fp8 v[176:179], a[96:97], v[184:185], v[176:179]// 000000003DDC: D3F300B0 0EC37160
	v_mfma_f32_16x16x32_fp8_fp8 v[176:179], a[98:99], v[186:187], v[176:179]// 000000003DE4: D3F300B0 0EC37562
	buffer_load_dwordx4 a[208:211], v40, s[92:95], 0 offen     // 000000003DEC: E05C1000 8097D028
	v_mfma_f32_16x16x32_fp8_fp8 v[176:179], a[100:101], v[188:189], v[176:179]// 000000003DF4: D3F300B0 0EC37964
	v_mfma_f32_16x16x32_fp8_fp8 v[176:179], a[102:103], v[190:191], v[176:179]// 000000003DFC: D3F300B0 0EC37D66
	v_mfma_f32_16x16x32_fp8_fp8 v[176:179], a[104:105], v[192:193], v[176:179]// 000000003E04: D3F300B0 0EC38168
	v_mfma_f32_16x16x32_fp8_fp8 v[176:179], a[106:107], v[194:195], v[176:179]// 000000003E0C: D3F300B0 0EC3856A
	buffer_load_dwordx4 a[212:215], v40, s[92:95], 0 offen offset:1024// 000000003E14: E05C1400 8097D428
	v_mfma_f32_16x16x32_fp8_fp8 v[176:179], a[108:109], v[196:197], v[176:179]// 000000003E1C: D3F300B0 0EC3896C
	v_mfma_f32_16x16x32_fp8_fp8 v[176:179], a[110:111], v[198:199], v[176:179]// 000000003E24: D3F300B0 0EC38D6E
	v_mfma_f32_16x16x32_fp8_fp8 v[180:183], a[96:97], v[200:201], v[180:183]// 000000003E2C: D3F300B4 0ED39160
	v_mfma_f32_16x16x32_fp8_fp8 v[180:183], a[98:99], v[202:203], v[180:183]// 000000003E34: D3F300B4 0ED39562
	buffer_load_dwordx4 a[216:219], v40, s[92:95], 0 offen offset:2048// 000000003E3C: E05C1800 8097D828
	v_mfma_f32_16x16x32_fp8_fp8 v[180:183], a[100:101], v[204:205], v[180:183]// 000000003E44: D3F300B4 0ED39964
	v_mfma_f32_16x16x32_fp8_fp8 v[180:183], a[102:103], v[206:207], v[180:183]// 000000003E4C: D3F300B4 0ED39D66
	v_mfma_f32_16x16x32_fp8_fp8 v[180:183], a[104:105], v[208:209], v[180:183]// 000000003E54: D3F300B4 0ED3A168
	v_mfma_f32_16x16x32_fp8_fp8 v[180:183], a[106:107], v[210:211], v[180:183]// 000000003E5C: D3F300B4 0ED3A56A
	buffer_load_dwordx4 a[220:223], v40, s[92:95], 0 offen offset:3072// 000000003E64: E05C1C00 8097DC28
	v_mfma_f32_16x16x32_fp8_fp8 v[180:183], a[108:109], v[212:213], v[180:183]// 000000003E6C: D3F300B4 0ED3A96C
	v_mfma_f32_16x16x32_fp8_fp8 v[180:183], a[110:111], v[214:215], v[180:183]// 000000003E74: D3F300B4 0ED3AD6E
	s_waitcnt vmcnt(20)                                        // 000000003E7C: BF8C4F74
	s_barrier                                                  // 000000003E80: BF8A0000
	v_mfma_f32_16x16x32_fp8_fp8 v[64:67], a[112:113], v[184:185], v[64:67]// 000000003E84: D3F30040 0D037170
	v_mfma_f32_16x16x32_fp8_fp8 v[64:67], a[114:115], v[186:187], v[64:67]// 000000003E8C: D3F30040 0D037572
	buffer_load_dwordx4 a[0:3], v34, s[24:27], 0 offen         // 000000003E94: E05C1000 80860022
	v_mfma_f32_16x16x32_fp8_fp8 v[64:67], a[116:117], v[188:189], v[64:67]// 000000003E9C: D3F30040 0D037974
	v_mfma_f32_16x16x32_fp8_fp8 v[64:67], a[118:119], v[190:191], v[64:67]// 000000003EA4: D3F30040 0D037D76
	v_mfma_f32_16x16x32_fp8_fp8 v[64:67], a[120:121], v[192:193], v[64:67]// 000000003EAC: D3F30040 0D038178
	v_mfma_f32_16x16x32_fp8_fp8 v[64:67], a[122:123], v[194:195], v[64:67]// 000000003EB4: D3F30040 0D03857A
	buffer_load_dwordx4 a[4:7], v34, s[24:27], 0 offen offset:1024// 000000003EBC: E05C1400 80860422
	v_mfma_f32_16x16x32_fp8_fp8 v[64:67], a[124:125], v[196:197], v[64:67]// 000000003EC4: D3F30040 0D03897C
	v_mfma_f32_16x16x32_fp8_fp8 v[64:67], a[126:127], v[198:199], v[64:67]// 000000003ECC: D3F30040 0D038D7E
	v_mfma_f32_16x16x32_fp8_fp8 v[68:71], a[112:113], v[200:201], v[68:71]// 000000003ED4: D3F30044 0D139170
	v_mfma_f32_16x16x32_fp8_fp8 v[68:71], a[114:115], v[202:203], v[68:71]// 000000003EDC: D3F30044 0D139572
	buffer_load_dwordx4 a[8:11], v34, s[24:27], 0 offen offset:2048// 000000003EE4: E05C1800 80860822
	v_mfma_f32_16x16x32_fp8_fp8 v[68:71], a[116:117], v[204:205], v[68:71]// 000000003EEC: D3F30044 0D139974
	v_mfma_f32_16x16x32_fp8_fp8 v[68:71], a[118:119], v[206:207], v[68:71]// 000000003EF4: D3F30044 0D139D76
	v_mfma_f32_16x16x32_fp8_fp8 v[68:71], a[120:121], v[208:209], v[68:71]// 000000003EFC: D3F30044 0D13A178
	v_mfma_f32_16x16x32_fp8_fp8 v[68:71], a[122:123], v[210:211], v[68:71]// 000000003F04: D3F30044 0D13A57A
	buffer_load_dwordx4 a[12:15], v34, s[24:27], 0 offen offset:3072// 000000003F0C: E05C1C00 80860C22
	v_mfma_f32_16x16x32_fp8_fp8 v[68:71], a[124:125], v[212:213], v[68:71]// 000000003F14: D3F30044 0D13A97C
	v_mfma_f32_16x16x32_fp8_fp8 v[68:71], a[126:127], v[214:215], v[68:71]// 000000003F1C: D3F30044 0D13AD7E
	v_mfma_f32_16x16x32_fp8_fp8 v[72:75], a[128:129], v[184:185], v[72:75]// 000000003F24: D3F30048 0D237180
	v_mfma_f32_16x16x32_fp8_fp8 v[72:75], a[130:131], v[186:187], v[72:75]// 000000003F2C: D3F30048 0D237582
	buffer_load_dwordx4 a[16:19], v35, s[24:27], 0 offen       // 000000003F34: E05C1000 80861023
	v_mfma_f32_16x16x32_fp8_fp8 v[72:75], a[132:133], v[188:189], v[72:75]// 000000003F3C: D3F30048 0D237984
	v_mfma_f32_16x16x32_fp8_fp8 v[72:75], a[134:135], v[190:191], v[72:75]// 000000003F44: D3F30048 0D237D86
	v_mfma_f32_16x16x32_fp8_fp8 v[72:75], a[136:137], v[192:193], v[72:75]// 000000003F4C: D3F30048 0D238188
	v_mfma_f32_16x16x32_fp8_fp8 v[72:75], a[138:139], v[194:195], v[72:75]// 000000003F54: D3F30048 0D23858A
	buffer_load_dwordx4 a[20:23], v35, s[24:27], 0 offen offset:1024// 000000003F5C: E05C1400 80861423
	v_mfma_f32_16x16x32_fp8_fp8 v[72:75], a[140:141], v[196:197], v[72:75]// 000000003F64: D3F30048 0D23898C
	v_mfma_f32_16x16x32_fp8_fp8 v[72:75], a[142:143], v[198:199], v[72:75]// 000000003F6C: D3F30048 0D238D8E
	v_mfma_f32_16x16x32_fp8_fp8 v[76:79], a[128:129], v[200:201], v[76:79]// 000000003F74: D3F3004C 0D339180
	v_mfma_f32_16x16x32_fp8_fp8 v[76:79], a[130:131], v[202:203], v[76:79]// 000000003F7C: D3F3004C 0D339582
	buffer_load_dwordx4 a[24:27], v35, s[24:27], 0 offen offset:2048// 000000003F84: E05C1800 80861823
	v_mfma_f32_16x16x32_fp8_fp8 v[76:79], a[132:133], v[204:205], v[76:79]// 000000003F8C: D3F3004C 0D339984
	v_mfma_f32_16x16x32_fp8_fp8 v[76:79], a[134:135], v[206:207], v[76:79]// 000000003F94: D3F3004C 0D339D86
	v_mfma_f32_16x16x32_fp8_fp8 v[76:79], a[136:137], v[208:209], v[76:79]// 000000003F9C: D3F3004C 0D33A188
	v_mfma_f32_16x16x32_fp8_fp8 v[76:79], a[138:139], v[210:211], v[76:79]// 000000003FA4: D3F3004C 0D33A58A
	buffer_load_dwordx4 a[28:31], v35, s[24:27], 0 offen offset:3072// 000000003FAC: E05C1C00 80861C23
	v_mfma_f32_16x16x32_fp8_fp8 v[76:79], a[140:141], v[212:213], v[76:79]// 000000003FB4: D3F3004C 0D33A98C
	v_mfma_f32_16x16x32_fp8_fp8 v[76:79], a[142:143], v[214:215], v[76:79]// 000000003FBC: D3F3004C 0D33AD8E
	s_waitcnt vmcnt(24)                                        // 000000003FC4: BF8C4F78
	v_mfma_f32_16x16x32_fp8_fp8 v[80:83], a[144:145], v[184:185], v[80:83]// 000000003FC8: D3F30050 0D437190
	v_mfma_f32_16x16x32_fp8_fp8 v[80:83], a[146:147], v[186:187], v[80:83]// 000000003FD0: D3F30050 0D437592
	buffer_load_dwordx4 a[32:35], v36, s[24:27], 0 offen       // 000000003FD8: E05C1000 80862024
	v_mfma_f32_16x16x32_fp8_fp8 v[80:83], a[148:149], v[188:189], v[80:83]// 000000003FE0: D3F30050 0D437994
	v_mfma_f32_16x16x32_fp8_fp8 v[80:83], a[150:151], v[190:191], v[80:83]// 000000003FE8: D3F30050 0D437D96
	ds_read_b128 v[216:219], v2 offset:8320                    // 000000003FF0: D9FE2080 D8000002
	v_mfma_f32_16x16x32_fp8_fp8 v[80:83], a[152:153], v[192:193], v[80:83]// 000000003FF8: D3F30050 0D438198
	v_mfma_f32_16x16x32_fp8_fp8 v[80:83], a[154:155], v[194:195], v[80:83]// 000000004000: D3F30050 0D43859A
	buffer_load_dwordx4 a[36:39], v36, s[24:27], 0 offen offset:1024// 000000004008: E05C1400 80862424
	v_mfma_f32_16x16x32_fp8_fp8 v[80:83], a[156:157], v[196:197], v[80:83]// 000000004010: D3F30050 0D43899C
	v_mfma_f32_16x16x32_fp8_fp8 v[80:83], a[158:159], v[198:199], v[80:83]// 000000004018: D3F30050 0D438D9E
	ds_read_b128 v[220:223], v2 offset:8384                    // 000000004020: D9FE20C0 DC000002
	v_mfma_f32_16x16x32_fp8_fp8 v[84:87], a[144:145], v[200:201], v[84:87]// 000000004028: D3F30054 0D539190
	v_mfma_f32_16x16x32_fp8_fp8 v[84:87], a[146:147], v[202:203], v[84:87]// 000000004030: D3F30054 0D539592
	buffer_load_dwordx4 a[40:43], v36, s[24:27], 0 offen offset:2048// 000000004038: E05C1800 80862824
	v_mfma_f32_16x16x32_fp8_fp8 v[84:87], a[148:149], v[204:205], v[84:87]// 000000004040: D3F30054 0D539994
	v_mfma_f32_16x16x32_fp8_fp8 v[84:87], a[150:151], v[206:207], v[84:87]// 000000004048: D3F30054 0D539D96
	ds_read_b128 v[224:227], v2 offset:8448                    // 000000004050: D9FE2100 E0000002
	v_mfma_f32_16x16x32_fp8_fp8 v[84:87], a[152:153], v[208:209], v[84:87]// 000000004058: D3F30054 0D53A198
	v_mfma_f32_16x16x32_fp8_fp8 v[84:87], a[154:155], v[210:211], v[84:87]// 000000004060: D3F30054 0D53A59A
	buffer_load_dwordx4 a[44:47], v36, s[24:27], 0 offen offset:3072// 000000004068: E05C1C00 80862C24
	v_mfma_f32_16x16x32_fp8_fp8 v[84:87], a[156:157], v[212:213], v[84:87]// 000000004070: D3F30054 0D53A99C
	v_mfma_f32_16x16x32_fp8_fp8 v[84:87], a[158:159], v[214:215], v[84:87]// 000000004078: D3F30054 0D53AD9E
	ds_read_b128 v[228:231], v2 offset:8512                    // 000000004080: D9FE2140 E4000002
	s_waitcnt vmcnt(24)                                        // 000000004088: BF8C4F78
	v_mfma_f32_16x16x32_fp8_fp8 v[88:91], a[160:161], v[184:185], v[88:91]// 00000000408C: D3F30058 0D6371A0
	v_mfma_f32_16x16x32_fp8_fp8 v[88:91], a[162:163], v[186:187], v[88:91]// 000000004094: D3F30058 0D6375A2
	buffer_load_dwordx4 a[48:51], v37, s[24:27], 0 offen       // 00000000409C: E05C1000 80863025
	v_mfma_f32_16x16x32_fp8_fp8 v[88:91], a[164:165], v[188:189], v[88:91]// 0000000040A4: D3F30058 0D6379A4
	v_mfma_f32_16x16x32_fp8_fp8 v[88:91], a[166:167], v[190:191], v[88:91]// 0000000040AC: D3F30058 0D637DA6
	ds_read_b128 v[232:235], v2 offset:9344                    // 0000000040B4: D9FE2480 E8000002
	v_mfma_f32_16x16x32_fp8_fp8 v[88:91], a[168:169], v[192:193], v[88:91]// 0000000040BC: D3F30058 0D6381A8
	v_mfma_f32_16x16x32_fp8_fp8 v[88:91], a[170:171], v[194:195], v[88:91]// 0000000040C4: D3F30058 0D6385AA
	buffer_load_dwordx4 a[52:55], v37, s[24:27], 0 offen offset:1024// 0000000040CC: E05C1400 80863425
	v_mfma_f32_16x16x32_fp8_fp8 v[88:91], a[172:173], v[196:197], v[88:91]// 0000000040D4: D3F30058 0D6389AC
	v_mfma_f32_16x16x32_fp8_fp8 v[88:91], a[174:175], v[198:199], v[88:91]// 0000000040DC: D3F30058 0D638DAE
	ds_read_b128 v[236:239], v2 offset:9408                    // 0000000040E4: D9FE24C0 EC000002
	v_mfma_f32_16x16x32_fp8_fp8 v[92:95], a[160:161], v[200:201], v[92:95]// 0000000040EC: D3F3005C 0D7391A0
	v_mfma_f32_16x16x32_fp8_fp8 v[92:95], a[162:163], v[202:203], v[92:95]// 0000000040F4: D3F3005C 0D7395A2
	buffer_load_dwordx4 a[56:59], v37, s[24:27], 0 offen offset:2048// 0000000040FC: E05C1800 80863825
	v_mfma_f32_16x16x32_fp8_fp8 v[92:95], a[164:165], v[204:205], v[92:95]// 000000004104: D3F3005C 0D7399A4
	v_mfma_f32_16x16x32_fp8_fp8 v[92:95], a[166:167], v[206:207], v[92:95]// 00000000410C: D3F3005C 0D739DA6
	ds_read_b128 v[240:243], v2 offset:9472                    // 000000004114: D9FE2500 F0000002
	v_mfma_f32_16x16x32_fp8_fp8 v[92:95], a[168:169], v[208:209], v[92:95]// 00000000411C: D3F3005C 0D73A1A8
	v_mfma_f32_16x16x32_fp8_fp8 v[92:95], a[170:171], v[210:211], v[92:95]// 000000004124: D3F3005C 0D73A5AA
	buffer_load_dwordx4 a[60:63], v37, s[24:27], 0 offen offset:3072// 00000000412C: E05C1C00 80863C25
	v_mfma_f32_16x16x32_fp8_fp8 v[92:95], a[172:173], v[212:213], v[92:95]// 000000004134: D3F3005C 0D73A9AC
	v_mfma_f32_16x16x32_fp8_fp8 v[92:95], a[174:175], v[214:215], v[92:95]// 00000000413C: D3F3005C 0D73ADAE
	ds_read_b128 v[244:247], v2 offset:9536                    // 000000004144: D9FE2540 F4000002
	s_waitcnt vmcnt(24)                                        // 00000000414C: BF8C4F78
	v_mfma_f32_16x16x32_fp8_fp8 v[96:99], a[176:177], v[184:185], v[96:99]// 000000004150: D3F30060 0D8371B0
	v_mfma_f32_16x16x32_fp8_fp8 v[96:99], a[178:179], v[186:187], v[96:99]// 000000004158: D3F30060 0D8375B2
	buffer_load_dwordx4 a[64:67], v38, s[24:27], 0 offen       // 000000004160: E05C1000 80864026
	v_mfma_f32_16x16x32_fp8_fp8 v[96:99], a[180:181], v[188:189], v[96:99]// 000000004168: D3F30060 0D8379B4
	v_mfma_f32_16x16x32_fp8_fp8 v[96:99], a[182:183], v[190:191], v[96:99]// 000000004170: D3F30060 0D837DB6
	v_mfma_f32_16x16x32_fp8_fp8 v[96:99], a[184:185], v[192:193], v[96:99]// 000000004178: D3F30060 0D8381B8
	v_mfma_f32_16x16x32_fp8_fp8 v[96:99], a[186:187], v[194:195], v[96:99]// 000000004180: D3F30060 0D8385BA
	buffer_load_dwordx4 a[68:71], v38, s[24:27], 0 offen offset:1024// 000000004188: E05C1400 80864426
	v_mfma_f32_16x16x32_fp8_fp8 v[96:99], a[188:189], v[196:197], v[96:99]// 000000004190: D3F30060 0D8389BC
	v_mfma_f32_16x16x32_fp8_fp8 v[96:99], a[190:191], v[198:199], v[96:99]// 000000004198: D3F30060 0D838DBE
	v_mfma_f32_16x16x32_fp8_fp8 v[100:103], a[176:177], v[200:201], v[100:103]// 0000000041A0: D3F30064 0D9391B0
	v_mfma_f32_16x16x32_fp8_fp8 v[100:103], a[178:179], v[202:203], v[100:103]// 0000000041A8: D3F30064 0D9395B2
	buffer_load_dwordx4 a[72:75], v38, s[24:27], 0 offen offset:2048// 0000000041B0: E05C1800 80864826
	v_mfma_f32_16x16x32_fp8_fp8 v[100:103], a[180:181], v[204:205], v[100:103]// 0000000041B8: D3F30064 0D9399B4
	v_mfma_f32_16x16x32_fp8_fp8 v[100:103], a[182:183], v[206:207], v[100:103]// 0000000041C0: D3F30064 0D939DB6
	v_mfma_f32_16x16x32_fp8_fp8 v[100:103], a[184:185], v[208:209], v[100:103]// 0000000041C8: D3F30064 0D93A1B8
	v_mfma_f32_16x16x32_fp8_fp8 v[100:103], a[186:187], v[210:211], v[100:103]// 0000000041D0: D3F30064 0D93A5BA
	buffer_load_dwordx4 a[76:79], v38, s[24:27], 0 offen offset:3072// 0000000041D8: E05C1C00 80864C26
	v_mfma_f32_16x16x32_fp8_fp8 v[100:103], a[188:189], v[212:213], v[100:103]// 0000000041E0: D3F30064 0D93A9BC
	v_mfma_f32_16x16x32_fp8_fp8 v[100:103], a[190:191], v[214:215], v[100:103]// 0000000041E8: D3F30064 0D93ADBE
	s_waitcnt vmcnt(24)                                        // 0000000041F0: BF8C4F78
	v_mfma_f32_16x16x32_fp8_fp8 v[104:107], a[192:193], v[184:185], v[104:107]// 0000000041F4: D3F30068 0DA371C0
	v_mfma_f32_16x16x32_fp8_fp8 v[104:107], a[194:195], v[186:187], v[104:107]// 0000000041FC: D3F30068 0DA375C2
	buffer_load_dwordx4 a[80:83], v39, s[24:27], 0 offen       // 000000004204: E05C1000 80865027
	v_mfma_f32_16x16x32_fp8_fp8 v[104:107], a[196:197], v[188:189], v[104:107]// 00000000420C: D3F30068 0DA379C4
	v_mfma_f32_16x16x32_fp8_fp8 v[104:107], a[198:199], v[190:191], v[104:107]// 000000004214: D3F30068 0DA37DC6
	v_mfma_f32_16x16x32_fp8_fp8 v[104:107], a[200:201], v[192:193], v[104:107]// 00000000421C: D3F30068 0DA381C8
	v_mfma_f32_16x16x32_fp8_fp8 v[104:107], a[202:203], v[194:195], v[104:107]// 000000004224: D3F30068 0DA385CA
	buffer_load_dwordx4 a[84:87], v39, s[24:27], 0 offen offset:1024// 00000000422C: E05C1400 80865427
	v_mfma_f32_16x16x32_fp8_fp8 v[104:107], a[204:205], v[196:197], v[104:107]// 000000004234: D3F30068 0DA389CC
	v_mfma_f32_16x16x32_fp8_fp8 v[104:107], a[206:207], v[198:199], v[104:107]// 00000000423C: D3F30068 0DA38DCE
	v_mfma_f32_16x16x32_fp8_fp8 v[108:111], a[192:193], v[200:201], v[108:111]// 000000004244: D3F3006C 0DB391C0
	v_mfma_f32_16x16x32_fp8_fp8 v[108:111], a[194:195], v[202:203], v[108:111]// 00000000424C: D3F3006C 0DB395C2
	buffer_load_dwordx4 a[88:91], v39, s[24:27], 0 offen offset:2048// 000000004254: E05C1800 80865827
	v_mfma_f32_16x16x32_fp8_fp8 v[108:111], a[196:197], v[204:205], v[108:111]// 00000000425C: D3F3006C 0DB399C4
	v_mfma_f32_16x16x32_fp8_fp8 v[108:111], a[198:199], v[206:207], v[108:111]// 000000004264: D3F3006C 0DB39DC6
	v_mfma_f32_16x16x32_fp8_fp8 v[108:111], a[200:201], v[208:209], v[108:111]// 00000000426C: D3F3006C 0DB3A1C8
	v_mfma_f32_16x16x32_fp8_fp8 v[108:111], a[202:203], v[210:211], v[108:111]// 000000004274: D3F3006C 0DB3A5CA
	buffer_load_dwordx4 a[92:95], v39, s[24:27], 0 offen offset:3072// 00000000427C: E05C1C00 80865C27
	v_mfma_f32_16x16x32_fp8_fp8 v[108:111], a[204:205], v[212:213], v[108:111]// 000000004284: D3F3006C 0DB3A9CC
	v_mfma_f32_16x16x32_fp8_fp8 v[108:111], a[206:207], v[214:215], v[108:111]// 00000000428C: D3F3006C 0DB3ADCE
	s_waitcnt vmcnt(24)                                        // 000000004294: BF8C4F78
	v_mfma_f32_16x16x32_fp8_fp8 v[112:115], a[208:209], v[184:185], v[112:115]// 000000004298: D3F30070 0DC371D0
	v_mfma_f32_16x16x32_fp8_fp8 v[112:115], a[210:211], v[186:187], v[112:115]// 0000000042A0: D3F30070 0DC375D2
	buffer_load_dwordx4 a[96:99], v40, s[24:27], 0 offen       // 0000000042A8: E05C1000 80866028
	v_mfma_f32_16x16x32_fp8_fp8 v[112:115], a[212:213], v[188:189], v[112:115]// 0000000042B0: D3F30070 0DC379D4
	v_mfma_f32_16x16x32_fp8_fp8 v[112:115], a[214:215], v[190:191], v[112:115]// 0000000042B8: D3F30070 0DC37DD6
	v_mfma_f32_16x16x32_fp8_fp8 v[112:115], a[216:217], v[192:193], v[112:115]// 0000000042C0: D3F30070 0DC381D8
	v_mfma_f32_16x16x32_fp8_fp8 v[112:115], a[218:219], v[194:195], v[112:115]// 0000000042C8: D3F30070 0DC385DA
	buffer_load_dwordx4 a[100:103], v40, s[24:27], 0 offen offset:1024// 0000000042D0: E05C1400 80866428
	v_mfma_f32_16x16x32_fp8_fp8 v[112:115], a[220:221], v[196:197], v[112:115]// 0000000042D8: D3F30070 0DC389DC
	v_mfma_f32_16x16x32_fp8_fp8 v[112:115], a[222:223], v[198:199], v[112:115]// 0000000042E0: D3F30070 0DC38DDE
	v_mfma_f32_16x16x32_fp8_fp8 v[116:119], a[208:209], v[200:201], v[116:119]// 0000000042E8: D3F30074 0DD391D0
	v_mfma_f32_16x16x32_fp8_fp8 v[116:119], a[210:211], v[202:203], v[116:119]// 0000000042F0: D3F30074 0DD395D2
	buffer_load_dwordx4 a[104:107], v40, s[24:27], 0 offen offset:2048// 0000000042F8: E05C1800 80866828
	v_mfma_f32_16x16x32_fp8_fp8 v[116:119], a[212:213], v[204:205], v[116:119]// 000000004300: D3F30074 0DD399D4
	v_mfma_f32_16x16x32_fp8_fp8 v[116:119], a[214:215], v[206:207], v[116:119]// 000000004308: D3F30074 0DD39DD6
	v_mfma_f32_16x16x32_fp8_fp8 v[116:119], a[216:217], v[208:209], v[116:119]// 000000004310: D3F30074 0DD3A1D8
	v_mfma_f32_16x16x32_fp8_fp8 v[116:119], a[218:219], v[210:211], v[116:119]// 000000004318: D3F30074 0DD3A5DA
	buffer_load_dwordx4 a[108:111], v40, s[24:27], 0 offen offset:3072// 000000004320: E05C1C00 80866C28
	v_mfma_f32_16x16x32_fp8_fp8 v[116:119], a[220:221], v[212:213], v[116:119]// 000000004328: D3F30074 0DD3A9DC
	v_mfma_f32_16x16x32_fp8_fp8 v[116:119], a[222:223], v[214:215], v[116:119]// 000000004330: D3F30074 0DD3ADDE
	s_add_u32 s60, 0x200, s80                                  // 000000004338: 803C50FF 00000200
	s_cmp_lt_u32 s60, s81                                      // 000000004340: BF0A513C
	s_cselect_b32 s57, s57, 0                                  // 000000004344: 85398039
	s_add_u32 s60, 0x200, s80                                  // 000000004348: 803C50FF 00000200
	s_cmp_lt_u32 s60, s81                                      // 000000004350: BF0A513C
	s_cselect_b32 s58, s58, 0                                  // 000000004354: 853A803A
	s_add_u32 s20, s57, s20                                    // 000000004358: 80141439
	s_addc_u32 s21, 0, s21                                     // 00000000435C: 82151580
	s_add_u32 s24, s58, s24                                    // 000000004360: 8018183A
	s_addc_u32 s25, 0, s25                                     // 000000004364: 82191980
	s_add_u32 s92, s90, s92                                    // 000000004368: 805C5C5A
	s_addc_u32 s93, 0, s93                                     // 00000000436C: 825D5D80
	s_addk_i32 s80, 0x100                                      // 000000004370: B7500100
	s_cmp_lt_i32 s80, s81                                      // 000000004374: BF045150
	s_cbranch_scc0 label_07DE                                  // 000000004378: BF84027F
	s_waitcnt vmcnt(20) lgkmcnt(0)                             // 00000000437C: BF8C4074
	s_barrier                                                  // 000000004380: BF8A0000
	v_mfma_f32_16x16x32_fp8_fp8 v[128:131], a[0:1], v[216:217], v[128:131]// 000000004384: D3F30080 0E03B100
	v_mfma_f32_16x16x32_fp8_fp8 v[128:131], a[2:3], v[218:219], v[128:131]// 00000000438C: D3F30080 0E03B502
	buffer_load_dwordx4 a[112:115], v34, s[92:95], 0 offen     // 000000004394: E05C1000 80977022
	v_mfma_f32_16x16x32_fp8_fp8 v[128:131], a[4:5], v[220:221], v[128:131]// 00000000439C: D3F30080 0E03B904
	v_mfma_f32_16x16x32_fp8_fp8 v[128:131], a[6:7], v[222:223], v[128:131]// 0000000043A4: D3F30080 0E03BD06
	buffer_load_dword v26, s[20:23], 0 offen lds               // 0000000043AC: E0511000 8005001A
	s_add_u32 m0, 0x100, s50                                   // 0000000043B4: 807C32FF 00000100
	v_mfma_f32_16x16x32_fp8_fp8 v[128:131], a[8:9], v[224:225], v[128:131]// 0000000043BC: D3F30080 0E03C108
	v_mfma_f32_16x16x32_fp8_fp8 v[128:131], a[10:11], v[226:227], v[128:131]// 0000000043C4: D3F30080 0E03C50A
	buffer_load_dwordx4 a[116:119], v34, s[92:95], 0 offen offset:1024// 0000000043CC: E05C1400 80977422
	v_mfma_f32_16x16x32_fp8_fp8 v[128:131], a[12:13], v[228:229], v[128:131]// 0000000043D4: D3F30080 0E03C90C
	v_mfma_f32_16x16x32_fp8_fp8 v[128:131], a[14:15], v[230:231], v[128:131]// 0000000043DC: D3F30080 0E03CD0E
	buffer_load_dword v27, s[20:23], 0 offen lds               // 0000000043E4: E0511000 8005001B
	s_add_u32 m0, 0x200, s50                                   // 0000000043EC: 807C32FF 00000200
	v_mfma_f32_16x16x32_fp8_fp8 v[132:135], a[0:1], v[232:233], v[132:135]// 0000000043F4: D3F30084 0E13D100
	v_mfma_f32_16x16x32_fp8_fp8 v[132:135], a[2:3], v[234:235], v[132:135]// 0000000043FC: D3F30084 0E13D502
	buffer_load_dwordx4 a[120:123], v34, s[92:95], 0 offen offset:2048// 000000004404: E05C1800 80977822
	v_mfma_f32_16x16x32_fp8_fp8 v[132:135], a[4:5], v[236:237], v[132:135]// 00000000440C: D3F30084 0E13D904
	v_mfma_f32_16x16x32_fp8_fp8 v[132:135], a[6:7], v[238:239], v[132:135]// 000000004414: D3F30084 0E13DD06
	buffer_load_dword v28, s[20:23], 0 offen lds               // 00000000441C: E0511000 8005001C
	s_add_u32 m0, 0x300, s50                                   // 000000004424: 807C32FF 00000300
	v_mfma_f32_16x16x32_fp8_fp8 v[132:135], a[8:9], v[240:241], v[132:135]// 00000000442C: D3F30084 0E13E108
	v_mfma_f32_16x16x32_fp8_fp8 v[132:135], a[10:11], v[242:243], v[132:135]// 000000004434: D3F30084 0E13E50A
	buffer_load_dwordx4 a[124:127], v34, s[92:95], 0 offen offset:3072// 00000000443C: E05C1C00 80977C22
	v_mfma_f32_16x16x32_fp8_fp8 v[132:135], a[12:13], v[244:245], v[132:135]// 000000004444: D3F30084 0E13E90C
	v_mfma_f32_16x16x32_fp8_fp8 v[132:135], a[14:15], v[246:247], v[132:135]// 00000000444C: D3F30084 0E13ED0E
	buffer_load_dword v29, s[20:23], 0 offen lds               // 000000004454: E0511000 8005001D
	s_add_u32 m0, 0x400, s50                                   // 00000000445C: 807C32FF 00000400
	v_mfma_f32_16x16x32_fp8_fp8 v[136:139], a[16:17], v[216:217], v[136:139]// 000000004464: D3F30088 0E23B110
	v_mfma_f32_16x16x32_fp8_fp8 v[136:139], a[18:19], v[218:219], v[136:139]// 00000000446C: D3F30088 0E23B512
	buffer_load_dwordx4 a[128:131], v35, s[92:95], 0 offen     // 000000004474: E05C1000 80978023
	v_mfma_f32_16x16x32_fp8_fp8 v[136:139], a[20:21], v[220:221], v[136:139]// 00000000447C: D3F30088 0E23B914
	v_mfma_f32_16x16x32_fp8_fp8 v[136:139], a[22:23], v[222:223], v[136:139]// 000000004484: D3F30088 0E23BD16
	buffer_load_dword v30, s[20:23], 0 offen lds               // 00000000448C: E0511000 8005001E
	s_add_u32 m0, 0x500, s50                                   // 000000004494: 807C32FF 00000500
	v_mfma_f32_16x16x32_fp8_fp8 v[136:139], a[24:25], v[224:225], v[136:139]// 00000000449C: D3F30088 0E23C118
	v_mfma_f32_16x16x32_fp8_fp8 v[136:139], a[26:27], v[226:227], v[136:139]// 0000000044A4: D3F30088 0E23C51A
	buffer_load_dwordx4 a[132:135], v35, s[92:95], 0 offen offset:1024// 0000000044AC: E05C1400 80978423
	v_mfma_f32_16x16x32_fp8_fp8 v[136:139], a[28:29], v[228:229], v[136:139]// 0000000044B4: D3F30088 0E23C91C
	v_mfma_f32_16x16x32_fp8_fp8 v[136:139], a[30:31], v[230:231], v[136:139]// 0000000044BC: D3F30088 0E23CD1E
	buffer_load_dword v31, s[20:23], 0 offen lds               // 0000000044C4: E0511000 8005001F
	s_add_u32 m0, 0x600, s50                                   // 0000000044CC: 807C32FF 00000600
	v_mfma_f32_16x16x32_fp8_fp8 v[140:143], a[16:17], v[232:233], v[140:143]// 0000000044D4: D3F3008C 0E33D110
	v_mfma_f32_16x16x32_fp8_fp8 v[140:143], a[18:19], v[234:235], v[140:143]// 0000000044DC: D3F3008C 0E33D512
	buffer_load_dwordx4 a[136:139], v35, s[92:95], 0 offen offset:2048// 0000000044E4: E05C1800 80978823
	v_mfma_f32_16x16x32_fp8_fp8 v[140:143], a[20:21], v[236:237], v[140:143]// 0000000044EC: D3F3008C 0E33D914
	v_mfma_f32_16x16x32_fp8_fp8 v[140:143], a[22:23], v[238:239], v[140:143]// 0000000044F4: D3F3008C 0E33DD16
	buffer_load_dword v32, s[20:23], 0 offen lds               // 0000000044FC: E0511000 80050020
	s_add_u32 m0, 0x700, s50                                   // 000000004504: 807C32FF 00000700
	v_mfma_f32_16x16x32_fp8_fp8 v[140:143], a[24:25], v[240:241], v[140:143]// 00000000450C: D3F3008C 0E33E118
	v_mfma_f32_16x16x32_fp8_fp8 v[140:143], a[26:27], v[242:243], v[140:143]// 000000004514: D3F3008C 0E33E51A
	buffer_load_dwordx4 a[140:143], v35, s[92:95], 0 offen offset:3072// 00000000451C: E05C1C00 80978C23
	v_mfma_f32_16x16x32_fp8_fp8 v[140:143], a[28:29], v[244:245], v[140:143]// 000000004524: D3F3008C 0E33E91C
	v_mfma_f32_16x16x32_fp8_fp8 v[140:143], a[30:31], v[246:247], v[140:143]// 00000000452C: D3F3008C 0E33ED1E
	buffer_load_dword v33, s[20:23], 0 offen lds               // 000000004534: E0511000 80050021
	s_add_u32 m0, 0, s51                                       // 00000000453C: 807C3380
	s_waitcnt vmcnt(32)                                        // 000000004540: BF8C8F70
	v_mfma_f32_16x16x32_fp8_fp8 v[144:147], a[32:33], v[216:217], v[144:147]// 000000004544: D3F30090 0E43B120
	v_mfma_f32_16x16x32_fp8_fp8 v[144:147], a[34:35], v[218:219], v[144:147]// 00000000454C: D3F30090 0E43B522
	buffer_load_dwordx4 a[144:147], v36, s[92:95], 0 offen     // 000000004554: E05C1000 80979024
	v_mfma_f32_16x16x32_fp8_fp8 v[144:147], a[36:37], v[220:221], v[144:147]// 00000000455C: D3F30090 0E43B924
	v_mfma_f32_16x16x32_fp8_fp8 v[144:147], a[38:39], v[222:223], v[144:147]// 000000004564: D3F30090 0E43BD26
	v_mfma_f32_16x16x32_fp8_fp8 v[144:147], a[40:41], v[224:225], v[144:147]// 00000000456C: D3F30090 0E43C128
	v_mfma_f32_16x16x32_fp8_fp8 v[144:147], a[42:43], v[226:227], v[144:147]// 000000004574: D3F30090 0E43C52A
	buffer_load_dwordx4 a[148:151], v36, s[92:95], 0 offen offset:1024// 00000000457C: E05C1400 80979424
	v_mfma_f32_16x16x32_fp8_fp8 v[144:147], a[44:45], v[228:229], v[144:147]// 000000004584: D3F30090 0E43C92C
	v_mfma_f32_16x16x32_fp8_fp8 v[144:147], a[46:47], v[230:231], v[144:147]// 00000000458C: D3F30090 0E43CD2E
	v_mfma_f32_16x16x32_fp8_fp8 v[148:151], a[32:33], v[232:233], v[148:151]// 000000004594: D3F30094 0E53D120
	v_mfma_f32_16x16x32_fp8_fp8 v[148:151], a[34:35], v[234:235], v[148:151]// 00000000459C: D3F30094 0E53D522
	buffer_load_dwordx4 a[152:155], v36, s[92:95], 0 offen offset:2048// 0000000045A4: E05C1800 80979824
	v_mfma_f32_16x16x32_fp8_fp8 v[148:151], a[36:37], v[236:237], v[148:151]// 0000000045AC: D3F30094 0E53D924
	v_mfma_f32_16x16x32_fp8_fp8 v[148:151], a[38:39], v[238:239], v[148:151]// 0000000045B4: D3F30094 0E53DD26
	v_mfma_f32_16x16x32_fp8_fp8 v[148:151], a[40:41], v[240:241], v[148:151]// 0000000045BC: D3F30094 0E53E128
	v_mfma_f32_16x16x32_fp8_fp8 v[148:151], a[42:43], v[242:243], v[148:151]// 0000000045C4: D3F30094 0E53E52A
	buffer_load_dwordx4 a[156:159], v36, s[92:95], 0 offen offset:3072// 0000000045CC: E05C1C00 80979C24
	v_mfma_f32_16x16x32_fp8_fp8 v[148:151], a[44:45], v[244:245], v[148:151]// 0000000045D4: D3F30094 0E53E92C
	v_mfma_f32_16x16x32_fp8_fp8 v[148:151], a[46:47], v[246:247], v[148:151]// 0000000045DC: D3F30094 0E53ED2E
	s_waitcnt vmcnt(32)                                        // 0000000045E4: BF8C8F70
	v_mfma_f32_16x16x32_fp8_fp8 v[152:155], a[48:49], v[216:217], v[152:155]// 0000000045E8: D3F30098 0E63B130
	v_mfma_f32_16x16x32_fp8_fp8 v[152:155], a[50:51], v[218:219], v[152:155]// 0000000045F0: D3F30098 0E63B532
	buffer_load_dwordx4 a[160:163], v37, s[92:95], 0 offen     // 0000000045F8: E05C1000 8097A025
	v_mfma_f32_16x16x32_fp8_fp8 v[152:155], a[52:53], v[220:221], v[152:155]// 000000004600: D3F30098 0E63B934
	v_mfma_f32_16x16x32_fp8_fp8 v[152:155], a[54:55], v[222:223], v[152:155]// 000000004608: D3F30098 0E63BD36
	v_mfma_f32_16x16x32_fp8_fp8 v[152:155], a[56:57], v[224:225], v[152:155]// 000000004610: D3F30098 0E63C138
	v_mfma_f32_16x16x32_fp8_fp8 v[152:155], a[58:59], v[226:227], v[152:155]// 000000004618: D3F30098 0E63C53A
	buffer_load_dwordx4 a[164:167], v37, s[92:95], 0 offen offset:1024// 000000004620: E05C1400 8097A425
	v_mfma_f32_16x16x32_fp8_fp8 v[152:155], a[60:61], v[228:229], v[152:155]// 000000004628: D3F30098 0E63C93C
	v_mfma_f32_16x16x32_fp8_fp8 v[152:155], a[62:63], v[230:231], v[152:155]// 000000004630: D3F30098 0E63CD3E
	v_mfma_f32_16x16x32_fp8_fp8 v[156:159], a[48:49], v[232:233], v[156:159]// 000000004638: D3F3009C 0E73D130
	v_mfma_f32_16x16x32_fp8_fp8 v[156:159], a[50:51], v[234:235], v[156:159]// 000000004640: D3F3009C 0E73D532
	buffer_load_dwordx4 a[168:171], v37, s[92:95], 0 offen offset:2048// 000000004648: E05C1800 8097A825
	v_mfma_f32_16x16x32_fp8_fp8 v[156:159], a[52:53], v[236:237], v[156:159]// 000000004650: D3F3009C 0E73D934
	v_mfma_f32_16x16x32_fp8_fp8 v[156:159], a[54:55], v[238:239], v[156:159]// 000000004658: D3F3009C 0E73DD36
	v_mfma_f32_16x16x32_fp8_fp8 v[156:159], a[56:57], v[240:241], v[156:159]// 000000004660: D3F3009C 0E73E138
	v_mfma_f32_16x16x32_fp8_fp8 v[156:159], a[58:59], v[242:243], v[156:159]// 000000004668: D3F3009C 0E73E53A
	buffer_load_dwordx4 a[172:175], v37, s[92:95], 0 offen offset:3072// 000000004670: E05C1C00 8097AC25
	v_mfma_f32_16x16x32_fp8_fp8 v[156:159], a[60:61], v[244:245], v[156:159]// 000000004678: D3F3009C 0E73E93C
	v_mfma_f32_16x16x32_fp8_fp8 v[156:159], a[62:63], v[246:247], v[156:159]// 000000004680: D3F3009C 0E73ED3E
	s_waitcnt vmcnt(32)                                        // 000000004688: BF8C8F70
	v_mfma_f32_16x16x32_fp8_fp8 v[160:163], a[64:65], v[216:217], v[160:163]// 00000000468C: D3F300A0 0E83B140
	v_mfma_f32_16x16x32_fp8_fp8 v[160:163], a[66:67], v[218:219], v[160:163]// 000000004694: D3F300A0 0E83B542
	buffer_load_dwordx4 a[176:179], v38, s[92:95], 0 offen     // 00000000469C: E05C1000 8097B026
	v_mfma_f32_16x16x32_fp8_fp8 v[160:163], a[68:69], v[220:221], v[160:163]// 0000000046A4: D3F300A0 0E83B944
	v_mfma_f32_16x16x32_fp8_fp8 v[160:163], a[70:71], v[222:223], v[160:163]// 0000000046AC: D3F300A0 0E83BD46
	v_mfma_f32_16x16x32_fp8_fp8 v[160:163], a[72:73], v[224:225], v[160:163]// 0000000046B4: D3F300A0 0E83C148
	v_mfma_f32_16x16x32_fp8_fp8 v[160:163], a[74:75], v[226:227], v[160:163]// 0000000046BC: D3F300A0 0E83C54A
	buffer_load_dwordx4 a[180:183], v38, s[92:95], 0 offen offset:1024// 0000000046C4: E05C1400 8097B426
	v_mfma_f32_16x16x32_fp8_fp8 v[160:163], a[76:77], v[228:229], v[160:163]// 0000000046CC: D3F300A0 0E83C94C
	v_mfma_f32_16x16x32_fp8_fp8 v[160:163], a[78:79], v[230:231], v[160:163]// 0000000046D4: D3F300A0 0E83CD4E
	v_mfma_f32_16x16x32_fp8_fp8 v[164:167], a[64:65], v[232:233], v[164:167]// 0000000046DC: D3F300A4 0E93D140
	v_mfma_f32_16x16x32_fp8_fp8 v[164:167], a[66:67], v[234:235], v[164:167]// 0000000046E4: D3F300A4 0E93D542
	buffer_load_dwordx4 a[184:187], v38, s[92:95], 0 offen offset:2048// 0000000046EC: E05C1800 8097B826
	v_mfma_f32_16x16x32_fp8_fp8 v[164:167], a[68:69], v[236:237], v[164:167]// 0000000046F4: D3F300A4 0E93D944
	v_mfma_f32_16x16x32_fp8_fp8 v[164:167], a[70:71], v[238:239], v[164:167]// 0000000046FC: D3F300A4 0E93DD46
	v_mfma_f32_16x16x32_fp8_fp8 v[164:167], a[72:73], v[240:241], v[164:167]// 000000004704: D3F300A4 0E93E148
	v_mfma_f32_16x16x32_fp8_fp8 v[164:167], a[74:75], v[242:243], v[164:167]// 00000000470C: D3F300A4 0E93E54A
	buffer_load_dwordx4 a[188:191], v38, s[92:95], 0 offen offset:3072// 000000004714: E05C1C00 8097BC26
	v_mfma_f32_16x16x32_fp8_fp8 v[164:167], a[76:77], v[244:245], v[164:167]// 00000000471C: D3F300A4 0E93E94C
	v_mfma_f32_16x16x32_fp8_fp8 v[164:167], a[78:79], v[246:247], v[164:167]// 000000004724: D3F300A4 0E93ED4E
	s_waitcnt vmcnt(32)                                        // 00000000472C: BF8C8F70
	v_mfma_f32_16x16x32_fp8_fp8 v[168:171], a[80:81], v[216:217], v[168:171]// 000000004730: D3F300A8 0EA3B150
	v_mfma_f32_16x16x32_fp8_fp8 v[168:171], a[82:83], v[218:219], v[168:171]// 000000004738: D3F300A8 0EA3B552
	buffer_load_dwordx4 a[192:195], v39, s[92:95], 0 offen     // 000000004740: E05C1000 8097C027
	v_mfma_f32_16x16x32_fp8_fp8 v[168:171], a[84:85], v[220:221], v[168:171]// 000000004748: D3F300A8 0EA3B954
	v_mfma_f32_16x16x32_fp8_fp8 v[168:171], a[86:87], v[222:223], v[168:171]// 000000004750: D3F300A8 0EA3BD56
	v_mfma_f32_16x16x32_fp8_fp8 v[168:171], a[88:89], v[224:225], v[168:171]// 000000004758: D3F300A8 0EA3C158
	v_mfma_f32_16x16x32_fp8_fp8 v[168:171], a[90:91], v[226:227], v[168:171]// 000000004760: D3F300A8 0EA3C55A
	buffer_load_dwordx4 a[196:199], v39, s[92:95], 0 offen offset:1024// 000000004768: E05C1400 8097C427
	v_mfma_f32_16x16x32_fp8_fp8 v[168:171], a[92:93], v[228:229], v[168:171]// 000000004770: D3F300A8 0EA3C95C
	v_mfma_f32_16x16x32_fp8_fp8 v[168:171], a[94:95], v[230:231], v[168:171]// 000000004778: D3F300A8 0EA3CD5E
	v_mfma_f32_16x16x32_fp8_fp8 v[172:175], a[80:81], v[232:233], v[172:175]// 000000004780: D3F300AC 0EB3D150
	v_mfma_f32_16x16x32_fp8_fp8 v[172:175], a[82:83], v[234:235], v[172:175]// 000000004788: D3F300AC 0EB3D552
	buffer_load_dwordx4 a[200:203], v39, s[92:95], 0 offen offset:2048// 000000004790: E05C1800 8097C827
	v_mfma_f32_16x16x32_fp8_fp8 v[172:175], a[84:85], v[236:237], v[172:175]// 000000004798: D3F300AC 0EB3D954
	v_mfma_f32_16x16x32_fp8_fp8 v[172:175], a[86:87], v[238:239], v[172:175]// 0000000047A0: D3F300AC 0EB3DD56
	v_mfma_f32_16x16x32_fp8_fp8 v[172:175], a[88:89], v[240:241], v[172:175]// 0000000047A8: D3F300AC 0EB3E158
	v_mfma_f32_16x16x32_fp8_fp8 v[172:175], a[90:91], v[242:243], v[172:175]// 0000000047B0: D3F300AC 0EB3E55A
	buffer_load_dwordx4 a[204:207], v39, s[92:95], 0 offen offset:3072// 0000000047B8: E05C1C00 8097CC27
	v_mfma_f32_16x16x32_fp8_fp8 v[172:175], a[92:93], v[244:245], v[172:175]// 0000000047C0: D3F300AC 0EB3E95C
	v_mfma_f32_16x16x32_fp8_fp8 v[172:175], a[94:95], v[246:247], v[172:175]// 0000000047C8: D3F300AC 0EB3ED5E
	s_waitcnt vmcnt(32)                                        // 0000000047D0: BF8C8F70
	v_mfma_f32_16x16x32_fp8_fp8 v[176:179], a[96:97], v[216:217], v[176:179]// 0000000047D4: D3F300B0 0EC3B160
	v_mfma_f32_16x16x32_fp8_fp8 v[176:179], a[98:99], v[218:219], v[176:179]// 0000000047DC: D3F300B0 0EC3B562
	buffer_load_dwordx4 a[208:211], v40, s[92:95], 0 offen     // 0000000047E4: E05C1000 8097D028
	v_mfma_f32_16x16x32_fp8_fp8 v[176:179], a[100:101], v[220:221], v[176:179]// 0000000047EC: D3F300B0 0EC3B964
	v_mfma_f32_16x16x32_fp8_fp8 v[176:179], a[102:103], v[222:223], v[176:179]// 0000000047F4: D3F300B0 0EC3BD66
	v_mfma_f32_16x16x32_fp8_fp8 v[176:179], a[104:105], v[224:225], v[176:179]// 0000000047FC: D3F300B0 0EC3C168
	v_mfma_f32_16x16x32_fp8_fp8 v[176:179], a[106:107], v[226:227], v[176:179]// 000000004804: D3F300B0 0EC3C56A
	buffer_load_dwordx4 a[212:215], v40, s[92:95], 0 offen offset:1024// 00000000480C: E05C1400 8097D428
	v_mfma_f32_16x16x32_fp8_fp8 v[176:179], a[108:109], v[228:229], v[176:179]// 000000004814: D3F300B0 0EC3C96C
	v_mfma_f32_16x16x32_fp8_fp8 v[176:179], a[110:111], v[230:231], v[176:179]// 00000000481C: D3F300B0 0EC3CD6E
	v_mfma_f32_16x16x32_fp8_fp8 v[180:183], a[96:97], v[232:233], v[180:183]// 000000004824: D3F300B4 0ED3D160
	v_mfma_f32_16x16x32_fp8_fp8 v[180:183], a[98:99], v[234:235], v[180:183]// 00000000482C: D3F300B4 0ED3D562
	buffer_load_dwordx4 a[216:219], v40, s[92:95], 0 offen offset:2048// 000000004834: E05C1800 8097D828
	v_mfma_f32_16x16x32_fp8_fp8 v[180:183], a[100:101], v[236:237], v[180:183]// 00000000483C: D3F300B4 0ED3D964
	v_mfma_f32_16x16x32_fp8_fp8 v[180:183], a[102:103], v[238:239], v[180:183]// 000000004844: D3F300B4 0ED3DD66
	v_mfma_f32_16x16x32_fp8_fp8 v[180:183], a[104:105], v[240:241], v[180:183]// 00000000484C: D3F300B4 0ED3E168
	v_mfma_f32_16x16x32_fp8_fp8 v[180:183], a[106:107], v[242:243], v[180:183]// 000000004854: D3F300B4 0ED3E56A
	buffer_load_dwordx4 a[220:223], v40, s[92:95], 0 offen offset:3072// 00000000485C: E05C1C00 8097DC28
	v_mfma_f32_16x16x32_fp8_fp8 v[180:183], a[108:109], v[244:245], v[180:183]// 000000004864: D3F300B4 0ED3E96C
	v_mfma_f32_16x16x32_fp8_fp8 v[180:183], a[110:111], v[246:247], v[180:183]// 00000000486C: D3F300B4 0ED3ED6E
	s_waitcnt vmcnt(20)                                        // 000000004874: BF8C4F74
	s_barrier                                                  // 000000004878: BF8A0000
	v_mfma_f32_16x16x32_fp8_fp8 v[64:67], a[112:113], v[216:217], v[64:67]// 00000000487C: D3F30040 0D03B170
	v_mfma_f32_16x16x32_fp8_fp8 v[64:67], a[114:115], v[218:219], v[64:67]// 000000004884: D3F30040 0D03B572
	buffer_load_dwordx4 a[0:3], v34, s[24:27], 0 offen         // 00000000488C: E05C1000 80860022
	v_mfma_f32_16x16x32_fp8_fp8 v[64:67], a[116:117], v[220:221], v[64:67]// 000000004894: D3F30040 0D03B974
	v_mfma_f32_16x16x32_fp8_fp8 v[64:67], a[118:119], v[222:223], v[64:67]// 00000000489C: D3F30040 0D03BD76
	v_mfma_f32_16x16x32_fp8_fp8 v[64:67], a[120:121], v[224:225], v[64:67]// 0000000048A4: D3F30040 0D03C178
	v_mfma_f32_16x16x32_fp8_fp8 v[64:67], a[122:123], v[226:227], v[64:67]// 0000000048AC: D3F30040 0D03C57A
	buffer_load_dwordx4 a[4:7], v34, s[24:27], 0 offen offset:1024// 0000000048B4: E05C1400 80860422
	v_mfma_f32_16x16x32_fp8_fp8 v[64:67], a[124:125], v[228:229], v[64:67]// 0000000048BC: D3F30040 0D03C97C
	v_mfma_f32_16x16x32_fp8_fp8 v[64:67], a[126:127], v[230:231], v[64:67]// 0000000048C4: D3F30040 0D03CD7E
	v_mfma_f32_16x16x32_fp8_fp8 v[68:71], a[112:113], v[232:233], v[68:71]// 0000000048CC: D3F30044 0D13D170
	v_mfma_f32_16x16x32_fp8_fp8 v[68:71], a[114:115], v[234:235], v[68:71]// 0000000048D4: D3F30044 0D13D572
	buffer_load_dwordx4 a[8:11], v34, s[24:27], 0 offen offset:2048// 0000000048DC: E05C1800 80860822
	v_mfma_f32_16x16x32_fp8_fp8 v[68:71], a[116:117], v[236:237], v[68:71]// 0000000048E4: D3F30044 0D13D974
	v_mfma_f32_16x16x32_fp8_fp8 v[68:71], a[118:119], v[238:239], v[68:71]// 0000000048EC: D3F30044 0D13DD76
	v_mfma_f32_16x16x32_fp8_fp8 v[68:71], a[120:121], v[240:241], v[68:71]// 0000000048F4: D3F30044 0D13E178
	v_mfma_f32_16x16x32_fp8_fp8 v[68:71], a[122:123], v[242:243], v[68:71]// 0000000048FC: D3F30044 0D13E57A
	buffer_load_dwordx4 a[12:15], v34, s[24:27], 0 offen offset:3072// 000000004904: E05C1C00 80860C22
	v_mfma_f32_16x16x32_fp8_fp8 v[68:71], a[124:125], v[244:245], v[68:71]// 00000000490C: D3F30044 0D13E97C
	v_mfma_f32_16x16x32_fp8_fp8 v[68:71], a[126:127], v[246:247], v[68:71]// 000000004914: D3F30044 0D13ED7E
	v_mfma_f32_16x16x32_fp8_fp8 v[72:75], a[128:129], v[216:217], v[72:75]// 00000000491C: D3F30048 0D23B180
	v_mfma_f32_16x16x32_fp8_fp8 v[72:75], a[130:131], v[218:219], v[72:75]// 000000004924: D3F30048 0D23B582
	buffer_load_dwordx4 a[16:19], v35, s[24:27], 0 offen       // 00000000492C: E05C1000 80861023
	v_mfma_f32_16x16x32_fp8_fp8 v[72:75], a[132:133], v[220:221], v[72:75]// 000000004934: D3F30048 0D23B984
	v_mfma_f32_16x16x32_fp8_fp8 v[72:75], a[134:135], v[222:223], v[72:75]// 00000000493C: D3F30048 0D23BD86
	v_mfma_f32_16x16x32_fp8_fp8 v[72:75], a[136:137], v[224:225], v[72:75]// 000000004944: D3F30048 0D23C188
	v_mfma_f32_16x16x32_fp8_fp8 v[72:75], a[138:139], v[226:227], v[72:75]// 00000000494C: D3F30048 0D23C58A
	buffer_load_dwordx4 a[20:23], v35, s[24:27], 0 offen offset:1024// 000000004954: E05C1400 80861423
	v_mfma_f32_16x16x32_fp8_fp8 v[72:75], a[140:141], v[228:229], v[72:75]// 00000000495C: D3F30048 0D23C98C
	v_mfma_f32_16x16x32_fp8_fp8 v[72:75], a[142:143], v[230:231], v[72:75]// 000000004964: D3F30048 0D23CD8E
	v_mfma_f32_16x16x32_fp8_fp8 v[76:79], a[128:129], v[232:233], v[76:79]// 00000000496C: D3F3004C 0D33D180
	v_mfma_f32_16x16x32_fp8_fp8 v[76:79], a[130:131], v[234:235], v[76:79]// 000000004974: D3F3004C 0D33D582
	buffer_load_dwordx4 a[24:27], v35, s[24:27], 0 offen offset:2048// 00000000497C: E05C1800 80861823
	v_mfma_f32_16x16x32_fp8_fp8 v[76:79], a[132:133], v[236:237], v[76:79]// 000000004984: D3F3004C 0D33D984
	v_mfma_f32_16x16x32_fp8_fp8 v[76:79], a[134:135], v[238:239], v[76:79]// 00000000498C: D3F3004C 0D33DD86
	v_mfma_f32_16x16x32_fp8_fp8 v[76:79], a[136:137], v[240:241], v[76:79]// 000000004994: D3F3004C 0D33E188
	v_mfma_f32_16x16x32_fp8_fp8 v[76:79], a[138:139], v[242:243], v[76:79]// 00000000499C: D3F3004C 0D33E58A
	buffer_load_dwordx4 a[28:31], v35, s[24:27], 0 offen offset:3072// 0000000049A4: E05C1C00 80861C23
	v_mfma_f32_16x16x32_fp8_fp8 v[76:79], a[140:141], v[244:245], v[76:79]// 0000000049AC: D3F3004C 0D33E98C
	v_mfma_f32_16x16x32_fp8_fp8 v[76:79], a[142:143], v[246:247], v[76:79]// 0000000049B4: D3F3004C 0D33ED8E
	s_waitcnt vmcnt(24)                                        // 0000000049BC: BF8C4F78
	v_mfma_f32_16x16x32_fp8_fp8 v[80:83], a[144:145], v[216:217], v[80:83]// 0000000049C0: D3F30050 0D43B190
	v_mfma_f32_16x16x32_fp8_fp8 v[80:83], a[146:147], v[218:219], v[80:83]// 0000000049C8: D3F30050 0D43B592
	buffer_load_dwordx4 a[32:35], v36, s[24:27], 0 offen       // 0000000049D0: E05C1000 80862024
	v_mfma_f32_16x16x32_fp8_fp8 v[80:83], a[148:149], v[220:221], v[80:83]// 0000000049D8: D3F30050 0D43B994
	v_mfma_f32_16x16x32_fp8_fp8 v[80:83], a[150:151], v[222:223], v[80:83]// 0000000049E0: D3F30050 0D43BD96
	ds_read_b128 v[184:187], v2                                // 0000000049E8: D9FE0000 B8000002
	v_mfma_f32_16x16x32_fp8_fp8 v[80:83], a[152:153], v[224:225], v[80:83]// 0000000049F0: D3F30050 0D43C198
	v_mfma_f32_16x16x32_fp8_fp8 v[80:83], a[154:155], v[226:227], v[80:83]// 0000000049F8: D3F30050 0D43C59A
	buffer_load_dwordx4 a[36:39], v36, s[24:27], 0 offen offset:1024// 000000004A00: E05C1400 80862424
	v_mfma_f32_16x16x32_fp8_fp8 v[80:83], a[156:157], v[228:229], v[80:83]// 000000004A08: D3F30050 0D43C99C
	v_mfma_f32_16x16x32_fp8_fp8 v[80:83], a[158:159], v[230:231], v[80:83]// 000000004A10: D3F30050 0D43CD9E
	ds_read_b128 v[188:191], v2 offset:64                      // 000000004A18: D9FE0040 BC000002
	v_mfma_f32_16x16x32_fp8_fp8 v[84:87], a[144:145], v[232:233], v[84:87]// 000000004A20: D3F30054 0D53D190
	v_mfma_f32_16x16x32_fp8_fp8 v[84:87], a[146:147], v[234:235], v[84:87]// 000000004A28: D3F30054 0D53D592
	buffer_load_dwordx4 a[40:43], v36, s[24:27], 0 offen offset:2048// 000000004A30: E05C1800 80862824
	v_mfma_f32_16x16x32_fp8_fp8 v[84:87], a[148:149], v[236:237], v[84:87]// 000000004A38: D3F30054 0D53D994
	v_mfma_f32_16x16x32_fp8_fp8 v[84:87], a[150:151], v[238:239], v[84:87]// 000000004A40: D3F30054 0D53DD96
	ds_read_b128 v[192:195], v2 offset:128                     // 000000004A48: D9FE0080 C0000002
	v_mfma_f32_16x16x32_fp8_fp8 v[84:87], a[152:153], v[240:241], v[84:87]// 000000004A50: D3F30054 0D53E198
	v_mfma_f32_16x16x32_fp8_fp8 v[84:87], a[154:155], v[242:243], v[84:87]// 000000004A58: D3F30054 0D53E59A
	buffer_load_dwordx4 a[44:47], v36, s[24:27], 0 offen offset:3072// 000000004A60: E05C1C00 80862C24
	v_mfma_f32_16x16x32_fp8_fp8 v[84:87], a[156:157], v[244:245], v[84:87]// 000000004A68: D3F30054 0D53E99C
	v_mfma_f32_16x16x32_fp8_fp8 v[84:87], a[158:159], v[246:247], v[84:87]// 000000004A70: D3F30054 0D53ED9E
	ds_read_b128 v[196:199], v2 offset:192                     // 000000004A78: D9FE00C0 C4000002
	s_waitcnt vmcnt(24)                                        // 000000004A80: BF8C4F78
	v_mfma_f32_16x16x32_fp8_fp8 v[88:91], a[160:161], v[216:217], v[88:91]// 000000004A84: D3F30058 0D63B1A0
	v_mfma_f32_16x16x32_fp8_fp8 v[88:91], a[162:163], v[218:219], v[88:91]// 000000004A8C: D3F30058 0D63B5A2
	buffer_load_dwordx4 a[48:51], v37, s[24:27], 0 offen       // 000000004A94: E05C1000 80863025
	v_mfma_f32_16x16x32_fp8_fp8 v[88:91], a[164:165], v[220:221], v[88:91]// 000000004A9C: D3F30058 0D63B9A4
	v_mfma_f32_16x16x32_fp8_fp8 v[88:91], a[166:167], v[222:223], v[88:91]// 000000004AA4: D3F30058 0D63BDA6
	ds_read_b128 v[200:203], v2 offset:1024                    // 000000004AAC: D9FE0400 C8000002
	v_mfma_f32_16x16x32_fp8_fp8 v[88:91], a[168:169], v[224:225], v[88:91]// 000000004AB4: D3F30058 0D63C1A8
	v_mfma_f32_16x16x32_fp8_fp8 v[88:91], a[170:171], v[226:227], v[88:91]// 000000004ABC: D3F30058 0D63C5AA
	buffer_load_dwordx4 a[52:55], v37, s[24:27], 0 offen offset:1024// 000000004AC4: E05C1400 80863425
	v_mfma_f32_16x16x32_fp8_fp8 v[88:91], a[172:173], v[228:229], v[88:91]// 000000004ACC: D3F30058 0D63C9AC
	v_mfma_f32_16x16x32_fp8_fp8 v[88:91], a[174:175], v[230:231], v[88:91]// 000000004AD4: D3F30058 0D63CDAE
	ds_read_b128 v[204:207], v2 offset:1088                    // 000000004ADC: D9FE0440 CC000002
	v_mfma_f32_16x16x32_fp8_fp8 v[92:95], a[160:161], v[232:233], v[92:95]// 000000004AE4: D3F3005C 0D73D1A0
	v_mfma_f32_16x16x32_fp8_fp8 v[92:95], a[162:163], v[234:235], v[92:95]// 000000004AEC: D3F3005C 0D73D5A2
	buffer_load_dwordx4 a[56:59], v37, s[24:27], 0 offen offset:2048// 000000004AF4: E05C1800 80863825
	v_mfma_f32_16x16x32_fp8_fp8 v[92:95], a[164:165], v[236:237], v[92:95]// 000000004AFC: D3F3005C 0D73D9A4
	v_mfma_f32_16x16x32_fp8_fp8 v[92:95], a[166:167], v[238:239], v[92:95]// 000000004B04: D3F3005C 0D73DDA6
	ds_read_b128 v[208:211], v2 offset:1152                    // 000000004B0C: D9FE0480 D0000002
	v_mfma_f32_16x16x32_fp8_fp8 v[92:95], a[168:169], v[240:241], v[92:95]// 000000004B14: D3F3005C 0D73E1A8
	v_mfma_f32_16x16x32_fp8_fp8 v[92:95], a[170:171], v[242:243], v[92:95]// 000000004B1C: D3F3005C 0D73E5AA
	buffer_load_dwordx4 a[60:63], v37, s[24:27], 0 offen offset:3072// 000000004B24: E05C1C00 80863C25
	v_mfma_f32_16x16x32_fp8_fp8 v[92:95], a[172:173], v[244:245], v[92:95]// 000000004B2C: D3F3005C 0D73E9AC
	v_mfma_f32_16x16x32_fp8_fp8 v[92:95], a[174:175], v[246:247], v[92:95]// 000000004B34: D3F3005C 0D73EDAE
	ds_read_b128 v[212:215], v2 offset:1216                    // 000000004B3C: D9FE04C0 D4000002
	s_waitcnt vmcnt(24)                                        // 000000004B44: BF8C4F78
	v_mfma_f32_16x16x32_fp8_fp8 v[96:99], a[176:177], v[216:217], v[96:99]// 000000004B48: D3F30060 0D83B1B0
	v_mfma_f32_16x16x32_fp8_fp8 v[96:99], a[178:179], v[218:219], v[96:99]// 000000004B50: D3F30060 0D83B5B2
	buffer_load_dwordx4 a[64:67], v38, s[24:27], 0 offen       // 000000004B58: E05C1000 80864026
	v_mfma_f32_16x16x32_fp8_fp8 v[96:99], a[180:181], v[220:221], v[96:99]// 000000004B60: D3F30060 0D83B9B4
	v_mfma_f32_16x16x32_fp8_fp8 v[96:99], a[182:183], v[222:223], v[96:99]// 000000004B68: D3F30060 0D83BDB6
	v_mfma_f32_16x16x32_fp8_fp8 v[96:99], a[184:185], v[224:225], v[96:99]// 000000004B70: D3F30060 0D83C1B8
	v_mfma_f32_16x16x32_fp8_fp8 v[96:99], a[186:187], v[226:227], v[96:99]// 000000004B78: D3F30060 0D83C5BA
	buffer_load_dwordx4 a[68:71], v38, s[24:27], 0 offen offset:1024// 000000004B80: E05C1400 80864426
	v_mfma_f32_16x16x32_fp8_fp8 v[96:99], a[188:189], v[228:229], v[96:99]// 000000004B88: D3F30060 0D83C9BC
	v_mfma_f32_16x16x32_fp8_fp8 v[96:99], a[190:191], v[230:231], v[96:99]// 000000004B90: D3F30060 0D83CDBE
	v_mfma_f32_16x16x32_fp8_fp8 v[100:103], a[176:177], v[232:233], v[100:103]// 000000004B98: D3F30064 0D93D1B0
	v_mfma_f32_16x16x32_fp8_fp8 v[100:103], a[178:179], v[234:235], v[100:103]// 000000004BA0: D3F30064 0D93D5B2
	buffer_load_dwordx4 a[72:75], v38, s[24:27], 0 offen offset:2048// 000000004BA8: E05C1800 80864826
	v_mfma_f32_16x16x32_fp8_fp8 v[100:103], a[180:181], v[236:237], v[100:103]// 000000004BB0: D3F30064 0D93D9B4
	v_mfma_f32_16x16x32_fp8_fp8 v[100:103], a[182:183], v[238:239], v[100:103]// 000000004BB8: D3F30064 0D93DDB6
	v_mfma_f32_16x16x32_fp8_fp8 v[100:103], a[184:185], v[240:241], v[100:103]// 000000004BC0: D3F30064 0D93E1B8
	v_mfma_f32_16x16x32_fp8_fp8 v[100:103], a[186:187], v[242:243], v[100:103]// 000000004BC8: D3F30064 0D93E5BA
	buffer_load_dwordx4 a[76:79], v38, s[24:27], 0 offen offset:3072// 000000004BD0: E05C1C00 80864C26
	v_mfma_f32_16x16x32_fp8_fp8 v[100:103], a[188:189], v[244:245], v[100:103]// 000000004BD8: D3F30064 0D93E9BC
	v_mfma_f32_16x16x32_fp8_fp8 v[100:103], a[190:191], v[246:247], v[100:103]// 000000004BE0: D3F30064 0D93EDBE
	s_waitcnt vmcnt(24)                                        // 000000004BE8: BF8C4F78
	v_mfma_f32_16x16x32_fp8_fp8 v[104:107], a[192:193], v[216:217], v[104:107]// 000000004BEC: D3F30068 0DA3B1C0
	v_mfma_f32_16x16x32_fp8_fp8 v[104:107], a[194:195], v[218:219], v[104:107]// 000000004BF4: D3F30068 0DA3B5C2
	buffer_load_dwordx4 a[80:83], v39, s[24:27], 0 offen       // 000000004BFC: E05C1000 80865027
	v_mfma_f32_16x16x32_fp8_fp8 v[104:107], a[196:197], v[220:221], v[104:107]// 000000004C04: D3F30068 0DA3B9C4
	v_mfma_f32_16x16x32_fp8_fp8 v[104:107], a[198:199], v[222:223], v[104:107]// 000000004C0C: D3F30068 0DA3BDC6
	v_mfma_f32_16x16x32_fp8_fp8 v[104:107], a[200:201], v[224:225], v[104:107]// 000000004C14: D3F30068 0DA3C1C8
	v_mfma_f32_16x16x32_fp8_fp8 v[104:107], a[202:203], v[226:227], v[104:107]// 000000004C1C: D3F30068 0DA3C5CA
	buffer_load_dwordx4 a[84:87], v39, s[24:27], 0 offen offset:1024// 000000004C24: E05C1400 80865427
	v_mfma_f32_16x16x32_fp8_fp8 v[104:107], a[204:205], v[228:229], v[104:107]// 000000004C2C: D3F30068 0DA3C9CC
	v_mfma_f32_16x16x32_fp8_fp8 v[104:107], a[206:207], v[230:231], v[104:107]// 000000004C34: D3F30068 0DA3CDCE
	v_mfma_f32_16x16x32_fp8_fp8 v[108:111], a[192:193], v[232:233], v[108:111]// 000000004C3C: D3F3006C 0DB3D1C0
	v_mfma_f32_16x16x32_fp8_fp8 v[108:111], a[194:195], v[234:235], v[108:111]// 000000004C44: D3F3006C 0DB3D5C2
	buffer_load_dwordx4 a[88:91], v39, s[24:27], 0 offen offset:2048// 000000004C4C: E05C1800 80865827
	v_mfma_f32_16x16x32_fp8_fp8 v[108:111], a[196:197], v[236:237], v[108:111]// 000000004C54: D3F3006C 0DB3D9C4
	v_mfma_f32_16x16x32_fp8_fp8 v[108:111], a[198:199], v[238:239], v[108:111]// 000000004C5C: D3F3006C 0DB3DDC6
	v_mfma_f32_16x16x32_fp8_fp8 v[108:111], a[200:201], v[240:241], v[108:111]// 000000004C64: D3F3006C 0DB3E1C8
	v_mfma_f32_16x16x32_fp8_fp8 v[108:111], a[202:203], v[242:243], v[108:111]// 000000004C6C: D3F3006C 0DB3E5CA
	buffer_load_dwordx4 a[92:95], v39, s[24:27], 0 offen offset:3072// 000000004C74: E05C1C00 80865C27
	v_mfma_f32_16x16x32_fp8_fp8 v[108:111], a[204:205], v[244:245], v[108:111]// 000000004C7C: D3F3006C 0DB3E9CC
	v_mfma_f32_16x16x32_fp8_fp8 v[108:111], a[206:207], v[246:247], v[108:111]// 000000004C84: D3F3006C 0DB3EDCE
	s_waitcnt vmcnt(24)                                        // 000000004C8C: BF8C4F78
	v_mfma_f32_16x16x32_fp8_fp8 v[112:115], a[208:209], v[216:217], v[112:115]// 000000004C90: D3F30070 0DC3B1D0
	v_mfma_f32_16x16x32_fp8_fp8 v[112:115], a[210:211], v[218:219], v[112:115]// 000000004C98: D3F30070 0DC3B5D2
	buffer_load_dwordx4 a[96:99], v40, s[24:27], 0 offen       // 000000004CA0: E05C1000 80866028
	v_mfma_f32_16x16x32_fp8_fp8 v[112:115], a[212:213], v[220:221], v[112:115]// 000000004CA8: D3F30070 0DC3B9D4
	v_mfma_f32_16x16x32_fp8_fp8 v[112:115], a[214:215], v[222:223], v[112:115]// 000000004CB0: D3F30070 0DC3BDD6
	v_mfma_f32_16x16x32_fp8_fp8 v[112:115], a[216:217], v[224:225], v[112:115]// 000000004CB8: D3F30070 0DC3C1D8
	v_mfma_f32_16x16x32_fp8_fp8 v[112:115], a[218:219], v[226:227], v[112:115]// 000000004CC0: D3F30070 0DC3C5DA
	buffer_load_dwordx4 a[100:103], v40, s[24:27], 0 offen offset:1024// 000000004CC8: E05C1400 80866428
	v_mfma_f32_16x16x32_fp8_fp8 v[112:115], a[220:221], v[228:229], v[112:115]// 000000004CD0: D3F30070 0DC3C9DC
	v_mfma_f32_16x16x32_fp8_fp8 v[112:115], a[222:223], v[230:231], v[112:115]// 000000004CD8: D3F30070 0DC3CDDE
	v_mfma_f32_16x16x32_fp8_fp8 v[116:119], a[208:209], v[232:233], v[116:119]// 000000004CE0: D3F30074 0DD3D1D0
	v_mfma_f32_16x16x32_fp8_fp8 v[116:119], a[210:211], v[234:235], v[116:119]// 000000004CE8: D3F30074 0DD3D5D2
	buffer_load_dwordx4 a[104:107], v40, s[24:27], 0 offen offset:2048// 000000004CF0: E05C1800 80866828
	v_mfma_f32_16x16x32_fp8_fp8 v[116:119], a[212:213], v[236:237], v[116:119]// 000000004CF8: D3F30074 0DD3D9D4
	v_mfma_f32_16x16x32_fp8_fp8 v[116:119], a[214:215], v[238:239], v[116:119]// 000000004D00: D3F30074 0DD3DDD6
	v_mfma_f32_16x16x32_fp8_fp8 v[116:119], a[216:217], v[240:241], v[116:119]// 000000004D08: D3F30074 0DD3E1D8
	v_mfma_f32_16x16x32_fp8_fp8 v[116:119], a[218:219], v[242:243], v[116:119]// 000000004D10: D3F30074 0DD3E5DA
	buffer_load_dwordx4 a[108:111], v40, s[24:27], 0 offen offset:3072// 000000004D18: E05C1C00 80866C28
	v_mfma_f32_16x16x32_fp8_fp8 v[116:119], a[220:221], v[244:245], v[116:119]// 000000004D20: D3F30074 0DD3E9DC
	v_mfma_f32_16x16x32_fp8_fp8 v[116:119], a[222:223], v[246:247], v[116:119]// 000000004D28: D3F30074 0DD3EDDE
	s_add_u32 s60, 0x200, s80                                  // 000000004D30: 803C50FF 00000200
	s_cmp_lt_u32 s60, s81                                      // 000000004D38: BF0A513C
	s_cselect_b32 s57, s57, 0                                  // 000000004D3C: 85398039
	s_add_u32 s60, 0x200, s80                                  // 000000004D40: 803C50FF 00000200
	s_cmp_lt_u32 s60, s81                                      // 000000004D48: BF0A513C
	s_cselect_b32 s58, s58, 0                                  // 000000004D4C: 853A803A
	s_add_u32 s20, s57, s20                                    // 000000004D50: 80141439
	s_addc_u32 s21, 0, s21                                     // 000000004D54: 82151580
	s_add_u32 s24, s58, s24                                    // 000000004D58: 8018183A
	s_addc_u32 s25, 0, s25                                     // 000000004D5C: 82191980
	s_add_u32 s92, s90, s92                                    // 000000004D60: 805C5C5A
	s_addc_u32 s93, 0, s93                                     // 000000004D64: 825D5D80
	s_addk_i32 s80, 0x100                                      // 000000004D68: B7500100
	s_cmp_lt_i32 s80, s81                                      // 000000004D6C: BF045150
	s_cbranch_scc0 label_07DE                                  // 000000004D70: BF840001
	s_branch label_02E1                                        // 000000004D74: BF82FB03

0000000000004d78 <label_07DE>:
	s_mov_b32 s36, -1                                          // 000000004D78: BEA400C1
	s_mov_b32 s37, -1                                          // 000000004D7C: BEA500C1
	s_mov_b64 s[60:61], 0                                      // 000000004D80: BEBC0180
	s_cmp_lt_u32 s82, s66                                      // 000000004D84: BF0A4252
	s_cselect_b64 s[20:21], s[36:37], s[60:61]                 // 000000004D88: 85943C24
	s_cmp_lt_u32 s83, s66                                      // 000000004D8C: BF0A4253
	s_cselect_b64 s[22:23], s[36:37], s[60:61]                 // 000000004D90: 85963C24
	s_cmp_lt_u32 s84, s66                                      // 000000004D94: BF0A4254
	s_cselect_b64 s[24:25], s[36:37], s[60:61]                 // 000000004D98: 85983C24
	s_cmp_lt_u32 s85, s66                                      // 000000004D9C: BF0A4255
	s_cselect_b64 s[26:27], s[36:37], s[60:61]                 // 000000004DA0: 859A3C24
	s_cmp_lt_u32 s86, s66                                      // 000000004DA4: BF0A4256
	s_cselect_b64 s[28:29], s[36:37], s[60:61]                 // 000000004DA8: 859C3C24
	s_cmp_lt_u32 s87, s66                                      // 000000004DAC: BF0A4257
	s_cselect_b64 s[30:31], s[36:37], s[60:61]                 // 000000004DB0: 859E3C24
	s_cmp_lt_u32 s88, s66                                      // 000000004DB4: BF0A4258
	s_cselect_b64 s[32:33], s[36:37], s[60:61]                 // 000000004DB8: 85A03C24
	s_cmp_lt_u32 s89, s66                                      // 000000004DBC: BF0A4259
	s_cselect_b64 s[34:35], s[36:37], s[60:61]                 // 000000004DC0: 85A23C24
	v_mul_f32_e32 v128, v14, v128                              // 000000004DC4: 0B01010E
	v_mul_f32_e32 v128, v20, v128                              // 000000004DC8: 0B010114
	v_mul_f32_e32 v129, v14, v129                              // 000000004DCC: 0B03030E
	v_mul_f32_e32 v129, v20, v129                              // 000000004DD0: 0B030314
	v_mul_f32_e32 v130, v14, v130                              // 000000004DD4: 0B05050E
	v_mul_f32_e32 v130, v20, v130                              // 000000004DD8: 0B050514
	v_mul_f32_e32 v131, v14, v131                              // 000000004DDC: 0B07070E
	v_mul_f32_e32 v131, v20, v131                              // 000000004DE0: 0B070714
	v_mul_f32_dpp v128, v16, v128 row_newbcast:0 row_mask:0xf bank_mask:0xf// 000000004DE4: 0B0100FA FF015010
	v_mul_f32_dpp v129, v16, v129 row_newbcast:1 row_mask:0xf bank_mask:0xf// 000000004DEC: 0B0302FA FF015110
	v_mul_f32_dpp v130, v16, v130 row_newbcast:2 row_mask:0xf bank_mask:0xf// 000000004DF4: 0B0504FA FF015210
	v_mul_f32_dpp v131, v16, v131 row_newbcast:3 row_mask:0xf bank_mask:0xf// 000000004DFC: 0B0706FA FF015310
	v_mul_f32_e32 v132, v15, v132                              // 000000004E04: 0B09090F
	v_mul_f32_e32 v132, v21, v132                              // 000000004E08: 0B090915
	v_mul_f32_e32 v133, v15, v133                              // 000000004E0C: 0B0B0B0F
	v_mul_f32_e32 v133, v21, v133                              // 000000004E10: 0B0B0B15
	v_mul_f32_e32 v134, v15, v134                              // 000000004E14: 0B0D0D0F
	v_mul_f32_e32 v134, v21, v134                              // 000000004E18: 0B0D0D15
	v_mul_f32_e32 v135, v15, v135                              // 000000004E1C: 0B0F0F0F
	v_mul_f32_e32 v135, v21, v135                              // 000000004E20: 0B0F0F15
	v_mul_f32_dpp v132, v16, v132 row_newbcast:0 row_mask:0xf bank_mask:0xf// 000000004E24: 0B0908FA FF015010
	v_mul_f32_dpp v133, v16, v133 row_newbcast:1 row_mask:0xf bank_mask:0xf// 000000004E2C: 0B0B0AFA FF015110
	v_mul_f32_dpp v134, v16, v134 row_newbcast:2 row_mask:0xf bank_mask:0xf// 000000004E34: 0B0D0CFA FF015210
	v_mul_f32_dpp v135, v16, v135 row_newbcast:3 row_mask:0xf bank_mask:0xf// 000000004E3C: 0B0F0EFA FF015310
	v_mul_f32_e32 v136, v14, v136                              // 000000004E44: 0B11110E
	v_mul_f32_e32 v136, v20, v136                              // 000000004E48: 0B111114
	v_mul_f32_e32 v137, v14, v137                              // 000000004E4C: 0B13130E
	v_mul_f32_e32 v137, v20, v137                              // 000000004E50: 0B131314
	v_mul_f32_e32 v138, v14, v138                              // 000000004E54: 0B15150E
	v_mul_f32_e32 v138, v20, v138                              // 000000004E58: 0B151514
	v_mul_f32_e32 v139, v14, v139                              // 000000004E5C: 0B17170E
	v_mul_f32_e32 v139, v20, v139                              // 000000004E60: 0B171714
	v_mul_f32_dpp v136, v16, v136 row_newbcast:4 row_mask:0xf bank_mask:0xf// 000000004E64: 0B1110FA FF015410
	v_mul_f32_dpp v137, v16, v137 row_newbcast:5 row_mask:0xf bank_mask:0xf// 000000004E6C: 0B1312FA FF015510
	v_mul_f32_dpp v138, v16, v138 row_newbcast:6 row_mask:0xf bank_mask:0xf// 000000004E74: 0B1514FA FF015610
	v_mul_f32_dpp v139, v16, v139 row_newbcast:7 row_mask:0xf bank_mask:0xf// 000000004E7C: 0B1716FA FF015710
	v_mul_f32_e32 v140, v15, v140                              // 000000004E84: 0B19190F
	v_mul_f32_e32 v140, v21, v140                              // 000000004E88: 0B191915
	v_mul_f32_e32 v141, v15, v141                              // 000000004E8C: 0B1B1B0F
	v_mul_f32_e32 v141, v21, v141                              // 000000004E90: 0B1B1B15
	v_mul_f32_e32 v142, v15, v142                              // 000000004E94: 0B1D1D0F
	v_mul_f32_e32 v142, v21, v142                              // 000000004E98: 0B1D1D15
	v_mul_f32_e32 v143, v15, v143                              // 000000004E9C: 0B1F1F0F
	v_mul_f32_e32 v143, v21, v143                              // 000000004EA0: 0B1F1F15
	v_mul_f32_dpp v140, v16, v140 row_newbcast:4 row_mask:0xf bank_mask:0xf// 000000004EA4: 0B1918FA FF015410
	v_mul_f32_dpp v141, v16, v141 row_newbcast:5 row_mask:0xf bank_mask:0xf// 000000004EAC: 0B1B1AFA FF015510
	v_mul_f32_dpp v142, v16, v142 row_newbcast:6 row_mask:0xf bank_mask:0xf// 000000004EB4: 0B1D1CFA FF015610
	v_mul_f32_dpp v143, v16, v143 row_newbcast:7 row_mask:0xf bank_mask:0xf// 000000004EBC: 0B1F1EFA FF015710
	v_mul_f32_e32 v144, v14, v144                              // 000000004EC4: 0B21210E
	v_mul_f32_e32 v144, v20, v144                              // 000000004EC8: 0B212114
	v_mul_f32_e32 v145, v14, v145                              // 000000004ECC: 0B23230E
	v_mul_f32_e32 v145, v20, v145                              // 000000004ED0: 0B232314
	v_mul_f32_e32 v146, v14, v146                              // 000000004ED4: 0B25250E
	v_mul_f32_e32 v146, v20, v146                              // 000000004ED8: 0B252514
	v_mul_f32_e32 v147, v14, v147                              // 000000004EDC: 0B27270E
	v_mul_f32_e32 v147, v20, v147                              // 000000004EE0: 0B272714
	v_mul_f32_dpp v144, v16, v144 row_newbcast:8 row_mask:0xf bank_mask:0xf// 000000004EE4: 0B2120FA FF015810
	v_mul_f32_dpp v145, v16, v145 row_newbcast:9 row_mask:0xf bank_mask:0xf// 000000004EEC: 0B2322FA FF015910
	v_mul_f32_dpp v146, v16, v146 row_newbcast:10 row_mask:0xf bank_mask:0xf// 000000004EF4: 0B2524FA FF015A10
	v_mul_f32_dpp v147, v16, v147 row_newbcast:11 row_mask:0xf bank_mask:0xf// 000000004EFC: 0B2726FA FF015B10
	v_mul_f32_e32 v148, v15, v148                              // 000000004F04: 0B29290F
	v_mul_f32_e32 v148, v21, v148                              // 000000004F08: 0B292915
	v_mul_f32_e32 v149, v15, v149                              // 000000004F0C: 0B2B2B0F
	v_mul_f32_e32 v149, v21, v149                              // 000000004F10: 0B2B2B15
	v_mul_f32_e32 v150, v15, v150                              // 000000004F14: 0B2D2D0F
	v_mul_f32_e32 v150, v21, v150                              // 000000004F18: 0B2D2D15
	v_mul_f32_e32 v151, v15, v151                              // 000000004F1C: 0B2F2F0F
	v_mul_f32_e32 v151, v21, v151                              // 000000004F20: 0B2F2F15
	v_mul_f32_dpp v148, v16, v148 row_newbcast:8 row_mask:0xf bank_mask:0xf// 000000004F24: 0B2928FA FF015810
	v_mul_f32_dpp v149, v16, v149 row_newbcast:9 row_mask:0xf bank_mask:0xf// 000000004F2C: 0B2B2AFA FF015910
	v_mul_f32_dpp v150, v16, v150 row_newbcast:10 row_mask:0xf bank_mask:0xf// 000000004F34: 0B2D2CFA FF015A10
	v_mul_f32_dpp v151, v16, v151 row_newbcast:11 row_mask:0xf bank_mask:0xf// 000000004F3C: 0B2F2EFA FF015B10
	v_mul_f32_e32 v152, v14, v152                              // 000000004F44: 0B31310E
	v_mul_f32_e32 v152, v20, v152                              // 000000004F48: 0B313114
	v_mul_f32_e32 v153, v14, v153                              // 000000004F4C: 0B33330E
	v_mul_f32_e32 v153, v20, v153                              // 000000004F50: 0B333314
	v_mul_f32_e32 v154, v14, v154                              // 000000004F54: 0B35350E
	v_mul_f32_e32 v154, v20, v154                              // 000000004F58: 0B353514
	v_mul_f32_e32 v155, v14, v155                              // 000000004F5C: 0B37370E
	v_mul_f32_e32 v155, v20, v155                              // 000000004F60: 0B373714
	v_mul_f32_dpp v152, v16, v152 row_newbcast:12 row_mask:0xf bank_mask:0xf// 000000004F64: 0B3130FA FF015C10
	v_mul_f32_dpp v153, v16, v153 row_newbcast:13 row_mask:0xf bank_mask:0xf// 000000004F6C: 0B3332FA FF015D10
	v_mul_f32_dpp v154, v16, v154 row_newbcast:14 row_mask:0xf bank_mask:0xf// 000000004F74: 0B3534FA FF015E10
	v_mul_f32_dpp v155, v16, v155 row_newbcast:15 row_mask:0xf bank_mask:0xf// 000000004F7C: 0B3736FA FF015F10
	v_mul_f32_e32 v156, v15, v156                              // 000000004F84: 0B39390F
	v_mul_f32_e32 v156, v21, v156                              // 000000004F88: 0B393915
	v_mul_f32_e32 v157, v15, v157                              // 000000004F8C: 0B3B3B0F
	v_mul_f32_e32 v157, v21, v157                              // 000000004F90: 0B3B3B15
	v_mul_f32_e32 v158, v15, v158                              // 000000004F94: 0B3D3D0F
	v_mul_f32_e32 v158, v21, v158                              // 000000004F98: 0B3D3D15
	v_mul_f32_e32 v159, v15, v159                              // 000000004F9C: 0B3F3F0F
	v_mul_f32_e32 v159, v21, v159                              // 000000004FA0: 0B3F3F15
	v_mul_f32_dpp v156, v16, v156 row_newbcast:12 row_mask:0xf bank_mask:0xf// 000000004FA4: 0B3938FA FF015C10
	v_mul_f32_dpp v157, v16, v157 row_newbcast:13 row_mask:0xf bank_mask:0xf// 000000004FAC: 0B3B3AFA FF015D10
	v_mul_f32_dpp v158, v16, v158 row_newbcast:14 row_mask:0xf bank_mask:0xf// 000000004FB4: 0B3D3CFA FF015E10
	v_mul_f32_dpp v159, v16, v159 row_newbcast:15 row_mask:0xf bank_mask:0xf// 000000004FBC: 0B3F3EFA FF015F10
	v_mul_f32_e32 v160, v14, v160                              // 000000004FC4: 0B41410E
	v_mul_f32_e32 v160, v20, v160                              // 000000004FC8: 0B414114
	v_mul_f32_e32 v161, v14, v161                              // 000000004FCC: 0B43430E
	v_mul_f32_e32 v161, v20, v161                              // 000000004FD0: 0B434314
	v_mul_f32_e32 v162, v14, v162                              // 000000004FD4: 0B45450E
	v_mul_f32_e32 v162, v20, v162                              // 000000004FD8: 0B454514
	v_mul_f32_e32 v163, v14, v163                              // 000000004FDC: 0B47470E
	v_mul_f32_e32 v163, v20, v163                              // 000000004FE0: 0B474714
	v_mul_f32_dpp v160, v17, v160 row_newbcast:0 row_mask:0xf bank_mask:0xf// 000000004FE4: 0B4140FA FF015011
	v_mul_f32_dpp v161, v17, v161 row_newbcast:1 row_mask:0xf bank_mask:0xf// 000000004FEC: 0B4342FA FF015111
	v_mul_f32_dpp v162, v17, v162 row_newbcast:2 row_mask:0xf bank_mask:0xf// 000000004FF4: 0B4544FA FF015211
	v_mul_f32_dpp v163, v17, v163 row_newbcast:3 row_mask:0xf bank_mask:0xf// 000000004FFC: 0B4746FA FF015311
	v_mul_f32_e32 v164, v15, v164                              // 000000005004: 0B49490F
	v_mul_f32_e32 v164, v21, v164                              // 000000005008: 0B494915
	v_mul_f32_e32 v165, v15, v165                              // 00000000500C: 0B4B4B0F
	v_mul_f32_e32 v165, v21, v165                              // 000000005010: 0B4B4B15
	v_mul_f32_e32 v166, v15, v166                              // 000000005014: 0B4D4D0F
	v_mul_f32_e32 v166, v21, v166                              // 000000005018: 0B4D4D15
	v_mul_f32_e32 v167, v15, v167                              // 00000000501C: 0B4F4F0F
	v_mul_f32_e32 v167, v21, v167                              // 000000005020: 0B4F4F15
	v_mul_f32_dpp v164, v17, v164 row_newbcast:0 row_mask:0xf bank_mask:0xf// 000000005024: 0B4948FA FF015011
	v_mul_f32_dpp v165, v17, v165 row_newbcast:1 row_mask:0xf bank_mask:0xf// 00000000502C: 0B4B4AFA FF015111
	v_mul_f32_dpp v166, v17, v166 row_newbcast:2 row_mask:0xf bank_mask:0xf// 000000005034: 0B4D4CFA FF015211
	v_mul_f32_dpp v167, v17, v167 row_newbcast:3 row_mask:0xf bank_mask:0xf// 00000000503C: 0B4F4EFA FF015311
	v_mul_f32_e32 v168, v14, v168                              // 000000005044: 0B51510E
	v_mul_f32_e32 v168, v20, v168                              // 000000005048: 0B515114
	v_mul_f32_e32 v169, v14, v169                              // 00000000504C: 0B53530E
	v_mul_f32_e32 v169, v20, v169                              // 000000005050: 0B535314
	v_mul_f32_e32 v170, v14, v170                              // 000000005054: 0B55550E
	v_mul_f32_e32 v170, v20, v170                              // 000000005058: 0B555514
	v_mul_f32_e32 v171, v14, v171                              // 00000000505C: 0B57570E
	v_mul_f32_e32 v171, v20, v171                              // 000000005060: 0B575714
	v_mul_f32_dpp v168, v17, v168 row_newbcast:4 row_mask:0xf bank_mask:0xf// 000000005064: 0B5150FA FF015411
	v_mul_f32_dpp v169, v17, v169 row_newbcast:5 row_mask:0xf bank_mask:0xf// 00000000506C: 0B5352FA FF015511
	v_mul_f32_dpp v170, v17, v170 row_newbcast:6 row_mask:0xf bank_mask:0xf// 000000005074: 0B5554FA FF015611
	v_mul_f32_dpp v171, v17, v171 row_newbcast:7 row_mask:0xf bank_mask:0xf// 00000000507C: 0B5756FA FF015711
	v_mul_f32_e32 v172, v15, v172                              // 000000005084: 0B59590F
	v_mul_f32_e32 v172, v21, v172                              // 000000005088: 0B595915
	v_mul_f32_e32 v173, v15, v173                              // 00000000508C: 0B5B5B0F
	v_mul_f32_e32 v173, v21, v173                              // 000000005090: 0B5B5B15
	v_mul_f32_e32 v174, v15, v174                              // 000000005094: 0B5D5D0F
	v_mul_f32_e32 v174, v21, v174                              // 000000005098: 0B5D5D15
	v_mul_f32_e32 v175, v15, v175                              // 00000000509C: 0B5F5F0F
	v_mul_f32_e32 v175, v21, v175                              // 0000000050A0: 0B5F5F15
	v_mul_f32_dpp v172, v17, v172 row_newbcast:4 row_mask:0xf bank_mask:0xf// 0000000050A4: 0B5958FA FF015411
	v_mul_f32_dpp v173, v17, v173 row_newbcast:5 row_mask:0xf bank_mask:0xf// 0000000050AC: 0B5B5AFA FF015511
	v_mul_f32_dpp v174, v17, v174 row_newbcast:6 row_mask:0xf bank_mask:0xf// 0000000050B4: 0B5D5CFA FF015611
	v_mul_f32_dpp v175, v17, v175 row_newbcast:7 row_mask:0xf bank_mask:0xf// 0000000050BC: 0B5F5EFA FF015711
	v_mul_f32_e32 v176, v14, v176                              // 0000000050C4: 0B61610E
	v_mul_f32_e32 v176, v20, v176                              // 0000000050C8: 0B616114
	v_mul_f32_e32 v177, v14, v177                              // 0000000050CC: 0B63630E
	v_mul_f32_e32 v177, v20, v177                              // 0000000050D0: 0B636314
	v_mul_f32_e32 v178, v14, v178                              // 0000000050D4: 0B65650E
	v_mul_f32_e32 v178, v20, v178                              // 0000000050D8: 0B656514
	v_mul_f32_e32 v179, v14, v179                              // 0000000050DC: 0B67670E
	v_mul_f32_e32 v179, v20, v179                              // 0000000050E0: 0B676714
	v_mul_f32_dpp v176, v17, v176 row_newbcast:8 row_mask:0xf bank_mask:0xf// 0000000050E4: 0B6160FA FF015811
	v_mul_f32_dpp v177, v17, v177 row_newbcast:9 row_mask:0xf bank_mask:0xf// 0000000050EC: 0B6362FA FF015911
	v_mul_f32_dpp v178, v17, v178 row_newbcast:10 row_mask:0xf bank_mask:0xf// 0000000050F4: 0B6564FA FF015A11
	v_mul_f32_dpp v179, v17, v179 row_newbcast:11 row_mask:0xf bank_mask:0xf// 0000000050FC: 0B6766FA FF015B11
	v_mul_f32_e32 v180, v15, v180                              // 000000005104: 0B69690F
	v_mul_f32_e32 v180, v21, v180                              // 000000005108: 0B696915
	v_mul_f32_e32 v181, v15, v181                              // 00000000510C: 0B6B6B0F
	v_mul_f32_e32 v181, v21, v181                              // 000000005110: 0B6B6B15
	v_mul_f32_e32 v182, v15, v182                              // 000000005114: 0B6D6D0F
	v_mul_f32_e32 v182, v21, v182                              // 000000005118: 0B6D6D15
	v_mul_f32_e32 v183, v15, v183                              // 00000000511C: 0B6F6F0F
	v_mul_f32_e32 v183, v21, v183                              // 000000005120: 0B6F6F15
	v_mul_f32_dpp v180, v17, v180 row_newbcast:8 row_mask:0xf bank_mask:0xf// 000000005124: 0B6968FA FF015811
	v_mul_f32_dpp v181, v17, v181 row_newbcast:9 row_mask:0xf bank_mask:0xf// 00000000512C: 0B6B6AFA FF015911
	v_mul_f32_dpp v182, v17, v182 row_newbcast:10 row_mask:0xf bank_mask:0xf// 000000005134: 0B6D6CFA FF015A11
	v_mul_f32_dpp v183, v17, v183 row_newbcast:11 row_mask:0xf bank_mask:0xf// 00000000513C: 0B6F6EFA FF015B11
	v_mul_f32_e32 v64, v14, v64                                // 000000005144: 0A80810E
	v_mul_f32_e32 v64, v20, v64                                // 000000005148: 0A808114
	v_mul_f32_e32 v65, v14, v65                                // 00000000514C: 0A82830E
	v_mul_f32_e32 v65, v20, v65                                // 000000005150: 0A828314
	v_mul_f32_e32 v66, v14, v66                                // 000000005154: 0A84850E
	v_mul_f32_e32 v66, v20, v66                                // 000000005158: 0A848514
	v_mul_f32_e32 v67, v14, v67                                // 00000000515C: 0A86870E
	v_mul_f32_e32 v67, v20, v67                                // 000000005160: 0A868714
	v_mul_f32_dpp v64, v49, v64 row_newbcast:0 row_mask:0xf bank_mask:0xf// 000000005164: 0A8080FA FF015031
	v_mul_f32_dpp v65, v49, v65 row_newbcast:1 row_mask:0xf bank_mask:0xf// 00000000516C: 0A8282FA FF015131
	v_mul_f32_dpp v66, v49, v66 row_newbcast:2 row_mask:0xf bank_mask:0xf// 000000005174: 0A8484FA FF015231
	v_mul_f32_dpp v67, v49, v67 row_newbcast:3 row_mask:0xf bank_mask:0xf// 00000000517C: 0A8686FA FF015331
	v_mul_f32_e32 v68, v15, v68                                // 000000005184: 0A88890F
	v_mul_f32_e32 v68, v21, v68                                // 000000005188: 0A888915
	v_mul_f32_e32 v69, v15, v69                                // 00000000518C: 0A8A8B0F
	v_mul_f32_e32 v69, v21, v69                                // 000000005190: 0A8A8B15
	v_mul_f32_e32 v70, v15, v70                                // 000000005194: 0A8C8D0F
	v_mul_f32_e32 v70, v21, v70                                // 000000005198: 0A8C8D15
	v_mul_f32_e32 v71, v15, v71                                // 00000000519C: 0A8E8F0F
	v_mul_f32_e32 v71, v21, v71                                // 0000000051A0: 0A8E8F15
	v_mul_f32_dpp v68, v49, v68 row_newbcast:0 row_mask:0xf bank_mask:0xf// 0000000051A4: 0A8888FA FF015031
	v_mul_f32_dpp v69, v49, v69 row_newbcast:1 row_mask:0xf bank_mask:0xf// 0000000051AC: 0A8A8AFA FF015131
	v_mul_f32_dpp v70, v49, v70 row_newbcast:2 row_mask:0xf bank_mask:0xf// 0000000051B4: 0A8C8CFA FF015231
	v_mul_f32_dpp v71, v49, v71 row_newbcast:3 row_mask:0xf bank_mask:0xf// 0000000051BC: 0A8E8EFA FF015331
	v_mul_f32_e32 v72, v14, v72                                // 0000000051C4: 0A90910E
	v_mul_f32_e32 v72, v20, v72                                // 0000000051C8: 0A909114
	v_mul_f32_e32 v73, v14, v73                                // 0000000051CC: 0A92930E
	v_mul_f32_e32 v73, v20, v73                                // 0000000051D0: 0A929314
	v_mul_f32_e32 v74, v14, v74                                // 0000000051D4: 0A94950E
	v_mul_f32_e32 v74, v20, v74                                // 0000000051D8: 0A949514
	v_mul_f32_e32 v75, v14, v75                                // 0000000051DC: 0A96970E
	v_mul_f32_e32 v75, v20, v75                                // 0000000051E0: 0A969714
	v_mul_f32_dpp v72, v49, v72 row_newbcast:4 row_mask:0xf bank_mask:0xf// 0000000051E4: 0A9090FA FF015431
	v_mul_f32_dpp v73, v49, v73 row_newbcast:5 row_mask:0xf bank_mask:0xf// 0000000051EC: 0A9292FA FF015531
	v_mul_f32_dpp v74, v49, v74 row_newbcast:6 row_mask:0xf bank_mask:0xf// 0000000051F4: 0A9494FA FF015631
	v_mul_f32_dpp v75, v49, v75 row_newbcast:7 row_mask:0xf bank_mask:0xf// 0000000051FC: 0A9696FA FF015731
	v_mul_f32_e32 v76, v15, v76                                // 000000005204: 0A98990F
	v_mul_f32_e32 v76, v21, v76                                // 000000005208: 0A989915
	v_mul_f32_e32 v77, v15, v77                                // 00000000520C: 0A9A9B0F
	v_mul_f32_e32 v77, v21, v77                                // 000000005210: 0A9A9B15
	v_mul_f32_e32 v78, v15, v78                                // 000000005214: 0A9C9D0F
	v_mul_f32_e32 v78, v21, v78                                // 000000005218: 0A9C9D15
	v_mul_f32_e32 v79, v15, v79                                // 00000000521C: 0A9E9F0F
	v_mul_f32_e32 v79, v21, v79                                // 000000005220: 0A9E9F15
	v_mul_f32_dpp v76, v49, v76 row_newbcast:4 row_mask:0xf bank_mask:0xf// 000000005224: 0A9898FA FF015431
	v_mul_f32_dpp v77, v49, v77 row_newbcast:5 row_mask:0xf bank_mask:0xf// 00000000522C: 0A9A9AFA FF015531
	v_mul_f32_dpp v78, v49, v78 row_newbcast:6 row_mask:0xf bank_mask:0xf// 000000005234: 0A9C9CFA FF015631
	v_mul_f32_dpp v79, v49, v79 row_newbcast:7 row_mask:0xf bank_mask:0xf// 00000000523C: 0A9E9EFA FF015731
	v_mul_f32_e32 v80, v14, v80                                // 000000005244: 0AA0A10E
	v_mul_f32_e32 v80, v20, v80                                // 000000005248: 0AA0A114
	v_mul_f32_e32 v81, v14, v81                                // 00000000524C: 0AA2A30E
	v_mul_f32_e32 v81, v20, v81                                // 000000005250: 0AA2A314
	v_mul_f32_e32 v82, v14, v82                                // 000000005254: 0AA4A50E
	v_mul_f32_e32 v82, v20, v82                                // 000000005258: 0AA4A514
	v_mul_f32_e32 v83, v14, v83                                // 00000000525C: 0AA6A70E
	v_mul_f32_e32 v83, v20, v83                                // 000000005260: 0AA6A714
	v_mul_f32_dpp v80, v49, v80 row_newbcast:8 row_mask:0xf bank_mask:0xf// 000000005264: 0AA0A0FA FF015831
	v_mul_f32_dpp v81, v49, v81 row_newbcast:9 row_mask:0xf bank_mask:0xf// 00000000526C: 0AA2A2FA FF015931
	v_mul_f32_dpp v82, v49, v82 row_newbcast:10 row_mask:0xf bank_mask:0xf// 000000005274: 0AA4A4FA FF015A31
	v_mul_f32_dpp v83, v49, v83 row_newbcast:11 row_mask:0xf bank_mask:0xf// 00000000527C: 0AA6A6FA FF015B31
	v_mul_f32_e32 v84, v15, v84                                // 000000005284: 0AA8A90F
	v_mul_f32_e32 v84, v21, v84                                // 000000005288: 0AA8A915
	v_mul_f32_e32 v85, v15, v85                                // 00000000528C: 0AAAAB0F
	v_mul_f32_e32 v85, v21, v85                                // 000000005290: 0AAAAB15
	v_mul_f32_e32 v86, v15, v86                                // 000000005294: 0AACAD0F
	v_mul_f32_e32 v86, v21, v86                                // 000000005298: 0AACAD15
	v_mul_f32_e32 v87, v15, v87                                // 00000000529C: 0AAEAF0F
	v_mul_f32_e32 v87, v21, v87                                // 0000000052A0: 0AAEAF15
	v_mul_f32_dpp v84, v49, v84 row_newbcast:8 row_mask:0xf bank_mask:0xf// 0000000052A4: 0AA8A8FA FF015831
	v_mul_f32_dpp v85, v49, v85 row_newbcast:9 row_mask:0xf bank_mask:0xf// 0000000052AC: 0AAAAAFA FF015931
	v_mul_f32_dpp v86, v49, v86 row_newbcast:10 row_mask:0xf bank_mask:0xf// 0000000052B4: 0AACACFA FF015A31
	v_mul_f32_dpp v87, v49, v87 row_newbcast:11 row_mask:0xf bank_mask:0xf// 0000000052BC: 0AAEAEFA FF015B31
	v_mul_f32_e32 v88, v14, v88                                // 0000000052C4: 0AB0B10E
	v_mul_f32_e32 v88, v20, v88                                // 0000000052C8: 0AB0B114
	v_mul_f32_e32 v89, v14, v89                                // 0000000052CC: 0AB2B30E
	v_mul_f32_e32 v89, v20, v89                                // 0000000052D0: 0AB2B314
	v_mul_f32_e32 v90, v14, v90                                // 0000000052D4: 0AB4B50E
	v_mul_f32_e32 v90, v20, v90                                // 0000000052D8: 0AB4B514
	v_mul_f32_e32 v91, v14, v91                                // 0000000052DC: 0AB6B70E
	v_mul_f32_e32 v91, v20, v91                                // 0000000052E0: 0AB6B714
	v_mul_f32_dpp v88, v49, v88 row_newbcast:12 row_mask:0xf bank_mask:0xf// 0000000052E4: 0AB0B0FA FF015C31
	v_mul_f32_dpp v89, v49, v89 row_newbcast:13 row_mask:0xf bank_mask:0xf// 0000000052EC: 0AB2B2FA FF015D31
	v_mul_f32_dpp v90, v49, v90 row_newbcast:14 row_mask:0xf bank_mask:0xf// 0000000052F4: 0AB4B4FA FF015E31
	v_mul_f32_dpp v91, v49, v91 row_newbcast:15 row_mask:0xf bank_mask:0xf// 0000000052FC: 0AB6B6FA FF015F31
	v_mul_f32_e32 v92, v15, v92                                // 000000005304: 0AB8B90F
	v_mul_f32_e32 v92, v21, v92                                // 000000005308: 0AB8B915
	v_mul_f32_e32 v93, v15, v93                                // 00000000530C: 0ABABB0F
	v_mul_f32_e32 v93, v21, v93                                // 000000005310: 0ABABB15
	v_mul_f32_e32 v94, v15, v94                                // 000000005314: 0ABCBD0F
	v_mul_f32_e32 v94, v21, v94                                // 000000005318: 0ABCBD15
	v_mul_f32_e32 v95, v15, v95                                // 00000000531C: 0ABEBF0F
	v_mul_f32_e32 v95, v21, v95                                // 000000005320: 0ABEBF15
	v_mul_f32_dpp v92, v49, v92 row_newbcast:12 row_mask:0xf bank_mask:0xf// 000000005324: 0AB8B8FA FF015C31
	v_mul_f32_dpp v93, v49, v93 row_newbcast:13 row_mask:0xf bank_mask:0xf// 00000000532C: 0ABABAFA FF015D31
	v_mul_f32_dpp v94, v49, v94 row_newbcast:14 row_mask:0xf bank_mask:0xf// 000000005334: 0ABCBCFA FF015E31
	v_mul_f32_dpp v95, v49, v95 row_newbcast:15 row_mask:0xf bank_mask:0xf// 00000000533C: 0ABEBEFA FF015F31
	v_mul_f32_e32 v96, v14, v96                                // 000000005344: 0AC0C10E
	v_mul_f32_e32 v96, v20, v96                                // 000000005348: 0AC0C114
	v_mul_f32_e32 v97, v14, v97                                // 00000000534C: 0AC2C30E
	v_mul_f32_e32 v97, v20, v97                                // 000000005350: 0AC2C314
	v_mul_f32_e32 v98, v14, v98                                // 000000005354: 0AC4C50E
	v_mul_f32_e32 v98, v20, v98                                // 000000005358: 0AC4C514
	v_mul_f32_e32 v99, v14, v99                                // 00000000535C: 0AC6C70E
	v_mul_f32_e32 v99, v20, v99                                // 000000005360: 0AC6C714
	v_mul_f32_dpp v96, v50, v96 row_newbcast:0 row_mask:0xf bank_mask:0xf// 000000005364: 0AC0C0FA FF015032
	v_mul_f32_dpp v97, v50, v97 row_newbcast:1 row_mask:0xf bank_mask:0xf// 00000000536C: 0AC2C2FA FF015132
	v_mul_f32_dpp v98, v50, v98 row_newbcast:2 row_mask:0xf bank_mask:0xf// 000000005374: 0AC4C4FA FF015232
	v_mul_f32_dpp v99, v50, v99 row_newbcast:3 row_mask:0xf bank_mask:0xf// 00000000537C: 0AC6C6FA FF015332
	v_mul_f32_e32 v100, v15, v100                              // 000000005384: 0AC8C90F
	v_mul_f32_e32 v100, v21, v100                              // 000000005388: 0AC8C915
	v_mul_f32_e32 v101, v15, v101                              // 00000000538C: 0ACACB0F
	v_mul_f32_e32 v101, v21, v101                              // 000000005390: 0ACACB15
	v_mul_f32_e32 v102, v15, v102                              // 000000005394: 0ACCCD0F
	v_mul_f32_e32 v102, v21, v102                              // 000000005398: 0ACCCD15
	v_mul_f32_e32 v103, v15, v103                              // 00000000539C: 0ACECF0F
	v_mul_f32_e32 v103, v21, v103                              // 0000000053A0: 0ACECF15
	v_mul_f32_dpp v100, v50, v100 row_newbcast:0 row_mask:0xf bank_mask:0xf// 0000000053A4: 0AC8C8FA FF015032
	v_mul_f32_dpp v101, v50, v101 row_newbcast:1 row_mask:0xf bank_mask:0xf// 0000000053AC: 0ACACAFA FF015132
	v_mul_f32_dpp v102, v50, v102 row_newbcast:2 row_mask:0xf bank_mask:0xf// 0000000053B4: 0ACCCCFA FF015232
	v_mul_f32_dpp v103, v50, v103 row_newbcast:3 row_mask:0xf bank_mask:0xf// 0000000053BC: 0ACECEFA FF015332
	v_mul_f32_e32 v104, v14, v104                              // 0000000053C4: 0AD0D10E
	v_mul_f32_e32 v104, v20, v104                              // 0000000053C8: 0AD0D114
	v_mul_f32_e32 v105, v14, v105                              // 0000000053CC: 0AD2D30E
	v_mul_f32_e32 v105, v20, v105                              // 0000000053D0: 0AD2D314
	v_mul_f32_e32 v106, v14, v106                              // 0000000053D4: 0AD4D50E
	v_mul_f32_e32 v106, v20, v106                              // 0000000053D8: 0AD4D514
	v_mul_f32_e32 v107, v14, v107                              // 0000000053DC: 0AD6D70E
	v_mul_f32_e32 v107, v20, v107                              // 0000000053E0: 0AD6D714
	v_mul_f32_dpp v104, v50, v104 row_newbcast:4 row_mask:0xf bank_mask:0xf// 0000000053E4: 0AD0D0FA FF015432
	v_mul_f32_dpp v105, v50, v105 row_newbcast:5 row_mask:0xf bank_mask:0xf// 0000000053EC: 0AD2D2FA FF015532
	v_mul_f32_dpp v106, v50, v106 row_newbcast:6 row_mask:0xf bank_mask:0xf// 0000000053F4: 0AD4D4FA FF015632
	v_mul_f32_dpp v107, v50, v107 row_newbcast:7 row_mask:0xf bank_mask:0xf// 0000000053FC: 0AD6D6FA FF015732
	v_mul_f32_e32 v108, v15, v108                              // 000000005404: 0AD8D90F
	v_mul_f32_e32 v108, v21, v108                              // 000000005408: 0AD8D915
	v_mul_f32_e32 v109, v15, v109                              // 00000000540C: 0ADADB0F
	v_mul_f32_e32 v109, v21, v109                              // 000000005410: 0ADADB15
	v_mul_f32_e32 v110, v15, v110                              // 000000005414: 0ADCDD0F
	v_mul_f32_e32 v110, v21, v110                              // 000000005418: 0ADCDD15
	v_mul_f32_e32 v111, v15, v111                              // 00000000541C: 0ADEDF0F
	v_mul_f32_e32 v111, v21, v111                              // 000000005420: 0ADEDF15
	v_mul_f32_dpp v108, v50, v108 row_newbcast:4 row_mask:0xf bank_mask:0xf// 000000005424: 0AD8D8FA FF015432
	v_mul_f32_dpp v109, v50, v109 row_newbcast:5 row_mask:0xf bank_mask:0xf// 00000000542C: 0ADADAFA FF015532
	v_mul_f32_dpp v110, v50, v110 row_newbcast:6 row_mask:0xf bank_mask:0xf// 000000005434: 0ADCDCFA FF015632
	v_mul_f32_dpp v111, v50, v111 row_newbcast:7 row_mask:0xf bank_mask:0xf// 00000000543C: 0ADEDEFA FF015732
	v_mul_f32_e32 v112, v14, v112                              // 000000005444: 0AE0E10E
	v_mul_f32_e32 v112, v20, v112                              // 000000005448: 0AE0E114
	v_mul_f32_e32 v113, v14, v113                              // 00000000544C: 0AE2E30E
	v_mul_f32_e32 v113, v20, v113                              // 000000005450: 0AE2E314
	v_mul_f32_e32 v114, v14, v114                              // 000000005454: 0AE4E50E
	v_mul_f32_e32 v114, v20, v114                              // 000000005458: 0AE4E514
	v_mul_f32_e32 v115, v14, v115                              // 00000000545C: 0AE6E70E
	v_mul_f32_e32 v115, v20, v115                              // 000000005460: 0AE6E714
	v_mul_f32_dpp v112, v50, v112 row_newbcast:8 row_mask:0xf bank_mask:0xf// 000000005464: 0AE0E0FA FF015832
	v_mul_f32_dpp v113, v50, v113 row_newbcast:9 row_mask:0xf bank_mask:0xf// 00000000546C: 0AE2E2FA FF015932
	v_mul_f32_dpp v114, v50, v114 row_newbcast:10 row_mask:0xf bank_mask:0xf// 000000005474: 0AE4E4FA FF015A32
	v_mul_f32_dpp v115, v50, v115 row_newbcast:11 row_mask:0xf bank_mask:0xf// 00000000547C: 0AE6E6FA FF015B32
	v_mul_f32_e32 v116, v15, v116                              // 000000005484: 0AE8E90F
	v_mul_f32_e32 v116, v21, v116                              // 000000005488: 0AE8E915
	v_mul_f32_e32 v117, v15, v117                              // 00000000548C: 0AEAEB0F
	v_mul_f32_e32 v117, v21, v117                              // 000000005490: 0AEAEB15
	v_mul_f32_e32 v118, v15, v118                              // 000000005494: 0AECED0F
	v_mul_f32_e32 v118, v21, v118                              // 000000005498: 0AECED15
	v_mul_f32_e32 v119, v15, v119                              // 00000000549C: 0AEEEF0F
	v_mul_f32_e32 v119, v21, v119                              // 0000000054A0: 0AEEEF15
	v_mul_f32_dpp v116, v50, v116 row_newbcast:8 row_mask:0xf bank_mask:0xf// 0000000054A4: 0AE8E8FA FF015832
	v_mul_f32_dpp v117, v50, v117 row_newbcast:9 row_mask:0xf bank_mask:0xf// 0000000054AC: 0AEAEAFA FF015932
	v_mul_f32_dpp v118, v50, v118 row_newbcast:10 row_mask:0xf bank_mask:0xf// 0000000054B4: 0AECECFA FF015A32
	v_mul_f32_dpp v119, v50, v119 row_newbcast:11 row_mask:0xf bank_mask:0xf// 0000000054BC: 0AEEEEFA FF015B32
	s_waitcnt vmcnt(24)                                        // 0000000054C4: BF8C4F78
	buffer_load_dwordx4 a[0:3], v41, s[12:15], 0 offen         // 0000000054C8: E05C1000 80830029
	v_mul_f32_e32 v52, v128, v128                              // 0000000054D0: 0A690180
	v_mul_f32_e32 v53, v129, v129                              // 0000000054D4: 0A6B0381
	v_mul_f32_e32 v54, v130, v130                              // 0000000054D8: 0A6D0582
	v_mul_f32_e32 v55, v131, v131                              // 0000000054DC: 0A6F0783
	v_fma_f32 v52, v52, s77, v1                                // 0000000054E0: D1CB0034 04049B34
	v_fma_f32 v53, v53, s77, v1                                // 0000000054E8: D1CB0035 04049B35
	v_fma_f32 v54, v54, s77, v1                                // 0000000054F0: D1CB0036 04049B36
	v_fma_f32 v55, v55, s77, v1                                // 0000000054F8: D1CB0037 04049B37
	v_mul_f32_e32 v52, v52, v128                               // 000000005500: 0A690134
	v_mul_f32_e32 v53, v53, v129                               // 000000005504: 0A6B0335
	v_mul_f32_e32 v54, v54, v130                               // 000000005508: 0A6D0536
	v_mul_f32_e32 v55, v55, v131                               // 00000000550C: 0A6F0737
	v_mul_f32_e64 v52, v52, s6                                 // 000000005510: D1050034 00000D34
	v_mul_f32_e64 v53, v53, s6                                 // 000000005518: D1050035 00000D35
	v_mul_f32_e64 v54, v54, s6                                 // 000000005520: D1050036 00000D36
	v_mul_f32_e64 v55, v55, s6                                 // 000000005528: D1050037 00000D37
	v_exp_f32_e32 v52, v52                                     // 000000005530: 7E684134
	v_exp_f32_e32 v53, v53                                     // 000000005534: 7E6A4135
	v_exp_f32_e32 v54, v54                                     // 000000005538: 7E6C4136
	v_exp_f32_e32 v55, v55                                     // 00000000553C: 7E6E4137
	buffer_load_dwordx4 a[4:7], v42, s[12:15], 0 offen         // 000000005540: E05C1000 8083042A
	v_add_f32_e64 v52, v52, 1.0                                // 000000005548: D1010034 0001E534
	v_add_f32_e64 v53, v53, 1.0                                // 000000005550: D1010035 0001E535
	v_add_f32_e64 v54, v54, 1.0                                // 000000005558: D1010036 0001E536
	v_add_f32_e64 v55, v55, 1.0                                // 000000005560: D1010037 0001E537
	v_rcp_f32_e32 v52, v52                                     // 000000005568: 7E684534
	v_rcp_f32_e32 v53, v53                                     // 00000000556C: 7E6A4535
	v_rcp_f32_e32 v54, v54                                     // 000000005570: 7E6C4536
	v_rcp_f32_e32 v55, v55                                     // 000000005574: 7E6E4537
	v_mul_f32_e32 v128, v128, v52                              // 000000005578: 0B006980
	v_mul_f32_e32 v129, v129, v53                              // 00000000557C: 0B026B81
	v_mul_f32_e32 v130, v130, v54                              // 000000005580: 0B046D82
	v_mul_f32_e32 v131, v131, v55                              // 000000005584: 0B066F83
	v_mul_f32_e32 v128, v128, v64                              // 000000005588: 0B008180
	v_mul_f32_e32 v129, v129, v65                              // 00000000558C: 0B028381
	v_mul_f32_e32 v130, v130, v66                              // 000000005590: 0B048582
	v_mul_f32_e32 v131, v131, v67                              // 000000005594: 0B068783
	buffer_load_dwordx4 a[8:11], v43, s[12:15], 0 offen        // 000000005598: E05C1000 8083082B
	v_mul_f32_e32 v52, v132, v132                              // 0000000055A0: 0A690984
	v_mul_f32_e32 v53, v133, v133                              // 0000000055A4: 0A6B0B85
	v_mul_f32_e32 v54, v134, v134                              // 0000000055A8: 0A6D0D86
	v_mul_f32_e32 v55, v135, v135                              // 0000000055AC: 0A6F0F87
	v_fma_f32 v52, v52, s77, v1                                // 0000000055B0: D1CB0034 04049B34
	v_fma_f32 v53, v53, s77, v1                                // 0000000055B8: D1CB0035 04049B35
	v_fma_f32 v54, v54, s77, v1                                // 0000000055C0: D1CB0036 04049B36
	v_fma_f32 v55, v55, s77, v1                                // 0000000055C8: D1CB0037 04049B37
	v_mul_f32_e32 v52, v52, v132                               // 0000000055D0: 0A690934
	v_mul_f32_e32 v53, v53, v133                               // 0000000055D4: 0A6B0B35
	v_mul_f32_e32 v54, v54, v134                               // 0000000055D8: 0A6D0D36
	v_mul_f32_e32 v55, v55, v135                               // 0000000055DC: 0A6F0F37
	v_mul_f32_e64 v52, v52, s6                                 // 0000000055E0: D1050034 00000D34
	v_mul_f32_e64 v53, v53, s6                                 // 0000000055E8: D1050035 00000D35
	v_mul_f32_e64 v54, v54, s6                                 // 0000000055F0: D1050036 00000D36
	v_mul_f32_e64 v55, v55, s6                                 // 0000000055F8: D1050037 00000D37
	v_exp_f32_e32 v52, v52                                     // 000000005600: 7E684134
	v_exp_f32_e32 v53, v53                                     // 000000005604: 7E6A4135
	v_exp_f32_e32 v54, v54                                     // 000000005608: 7E6C4136
	v_exp_f32_e32 v55, v55                                     // 00000000560C: 7E6E4137
	buffer_load_dwordx4 a[12:15], v44, s[12:15], 0 offen       // 000000005610: E05C1000 80830C2C
	s_add_u32 s12, s78, s12                                    // 000000005618: 800C0C4E
	s_addc_u32 s13, 0, s13                                     // 00000000561C: 820D0D80
	v_add_f32_e64 v52, v52, 1.0                                // 000000005620: D1010034 0001E534
	v_add_f32_e64 v53, v53, 1.0                                // 000000005628: D1010035 0001E535
	v_add_f32_e64 v54, v54, 1.0                                // 000000005630: D1010036 0001E536
	v_add_f32_e64 v55, v55, 1.0                                // 000000005638: D1010037 0001E537
	v_rcp_f32_e32 v52, v52                                     // 000000005640: 7E684534
	v_rcp_f32_e32 v53, v53                                     // 000000005644: 7E6A4535
	v_rcp_f32_e32 v54, v54                                     // 000000005648: 7E6C4536
	v_rcp_f32_e32 v55, v55                                     // 00000000564C: 7E6E4537
	v_mul_f32_e32 v132, v132, v52                              // 000000005650: 0B086984
	v_mul_f32_e32 v133, v133, v53                              // 000000005654: 0B0A6B85
	v_mul_f32_e32 v134, v134, v54                              // 000000005658: 0B0C6D86
	v_mul_f32_e32 v135, v135, v55                              // 00000000565C: 0B0E6F87
	v_mul_f32_e32 v132, v132, v68                              // 000000005660: 0B088984
	v_mul_f32_e32 v133, v133, v69                              // 000000005664: 0B0A8B85
	v_mul_f32_e32 v134, v134, v70                              // 000000005668: 0B0C8D86
	v_mul_f32_e32 v135, v135, v71                              // 00000000566C: 0B0E8F87
	s_waitcnt vmcnt(24)                                        // 000000005670: BF8C4F78
	buffer_load_dwordx4 a[16:19], v41, s[12:15], 0 offen       // 000000005674: E05C1000 80831029
	v_mul_f32_e32 v52, v136, v136                              // 00000000567C: 0A691188
	v_mul_f32_e32 v53, v137, v137                              // 000000005680: 0A6B1389
	v_mul_f32_e32 v54, v138, v138                              // 000000005684: 0A6D158A
	v_mul_f32_e32 v55, v139, v139                              // 000000005688: 0A6F178B
	v_fma_f32 v52, v52, s77, v1                                // 00000000568C: D1CB0034 04049B34
	v_fma_f32 v53, v53, s77, v1                                // 000000005694: D1CB0035 04049B35
	v_fma_f32 v54, v54, s77, v1                                // 00000000569C: D1CB0036 04049B36
	v_fma_f32 v55, v55, s77, v1                                // 0000000056A4: D1CB0037 04049B37
	v_mul_f32_e32 v52, v52, v136                               // 0000000056AC: 0A691134
	v_mul_f32_e32 v53, v53, v137                               // 0000000056B0: 0A6B1335
	v_mul_f32_e32 v54, v54, v138                               // 0000000056B4: 0A6D1536
	v_mul_f32_e32 v55, v55, v139                               // 0000000056B8: 0A6F1737
	v_mul_f32_e64 v52, v52, s6                                 // 0000000056BC: D1050034 00000D34
	v_mul_f32_e64 v53, v53, s6                                 // 0000000056C4: D1050035 00000D35
	v_mul_f32_e64 v54, v54, s6                                 // 0000000056CC: D1050036 00000D36
	v_mul_f32_e64 v55, v55, s6                                 // 0000000056D4: D1050037 00000D37
	v_exp_f32_e32 v52, v52                                     // 0000000056DC: 7E684134
	v_exp_f32_e32 v53, v53                                     // 0000000056E0: 7E6A4135
	v_exp_f32_e32 v54, v54                                     // 0000000056E4: 7E6C4136
	v_exp_f32_e32 v55, v55                                     // 0000000056E8: 7E6E4137
	buffer_load_dwordx4 a[20:23], v42, s[12:15], 0 offen       // 0000000056EC: E05C1000 8083142A
	v_add_f32_e64 v52, v52, 1.0                                // 0000000056F4: D1010034 0001E534
	v_add_f32_e64 v53, v53, 1.0                                // 0000000056FC: D1010035 0001E535
	v_add_f32_e64 v54, v54, 1.0                                // 000000005704: D1010036 0001E536
	v_add_f32_e64 v55, v55, 1.0                                // 00000000570C: D1010037 0001E537
	v_rcp_f32_e32 v52, v52                                     // 000000005714: 7E684534
	v_rcp_f32_e32 v53, v53                                     // 000000005718: 7E6A4535
	v_rcp_f32_e32 v54, v54                                     // 00000000571C: 7E6C4536
	v_rcp_f32_e32 v55, v55                                     // 000000005720: 7E6E4537
	v_mul_f32_e32 v136, v136, v52                              // 000000005724: 0B106988
	v_mul_f32_e32 v137, v137, v53                              // 000000005728: 0B126B89
	v_mul_f32_e32 v138, v138, v54                              // 00000000572C: 0B146D8A
	v_mul_f32_e32 v139, v139, v55                              // 000000005730: 0B166F8B
	v_mul_f32_e32 v136, v136, v72                              // 000000005734: 0B109188
	v_mul_f32_e32 v137, v137, v73                              // 000000005738: 0B129389
	v_mul_f32_e32 v138, v138, v74                              // 00000000573C: 0B14958A
	v_mul_f32_e32 v139, v139, v75                              // 000000005740: 0B16978B
	buffer_load_dwordx4 a[24:27], v43, s[12:15], 0 offen       // 000000005744: E05C1000 8083182B
	v_mul_f32_e32 v52, v140, v140                              // 00000000574C: 0A69198C
	v_mul_f32_e32 v53, v141, v141                              // 000000005750: 0A6B1B8D
	v_mul_f32_e32 v54, v142, v142                              // 000000005754: 0A6D1D8E
	v_mul_f32_e32 v55, v143, v143                              // 000000005758: 0A6F1F8F
	v_fma_f32 v52, v52, s77, v1                                // 00000000575C: D1CB0034 04049B34
	v_fma_f32 v53, v53, s77, v1                                // 000000005764: D1CB0035 04049B35
	v_fma_f32 v54, v54, s77, v1                                // 00000000576C: D1CB0036 04049B36
	v_fma_f32 v55, v55, s77, v1                                // 000000005774: D1CB0037 04049B37
	v_mul_f32_e32 v52, v52, v140                               // 00000000577C: 0A691934
	v_mul_f32_e32 v53, v53, v141                               // 000000005780: 0A6B1B35
	v_mul_f32_e32 v54, v54, v142                               // 000000005784: 0A6D1D36
	v_mul_f32_e32 v55, v55, v143                               // 000000005788: 0A6F1F37
	v_mul_f32_e64 v52, v52, s6                                 // 00000000578C: D1050034 00000D34
	v_mul_f32_e64 v53, v53, s6                                 // 000000005794: D1050035 00000D35
	v_mul_f32_e64 v54, v54, s6                                 // 00000000579C: D1050036 00000D36
	v_mul_f32_e64 v55, v55, s6                                 // 0000000057A4: D1050037 00000D37
	v_exp_f32_e32 v52, v52                                     // 0000000057AC: 7E684134
	v_exp_f32_e32 v53, v53                                     // 0000000057B0: 7E6A4135
	v_exp_f32_e32 v54, v54                                     // 0000000057B4: 7E6C4136
	v_exp_f32_e32 v55, v55                                     // 0000000057B8: 7E6E4137
	buffer_load_dwordx4 a[28:31], v44, s[12:15], 0 offen       // 0000000057BC: E05C1000 80831C2C
	s_add_u32 s12, s78, s12                                    // 0000000057C4: 800C0C4E
	s_addc_u32 s13, 0, s13                                     // 0000000057C8: 820D0D80
	v_add_f32_e64 v52, v52, 1.0                                // 0000000057CC: D1010034 0001E534
	v_add_f32_e64 v53, v53, 1.0                                // 0000000057D4: D1010035 0001E535
	v_add_f32_e64 v54, v54, 1.0                                // 0000000057DC: D1010036 0001E536
	v_add_f32_e64 v55, v55, 1.0                                // 0000000057E4: D1010037 0001E537
	v_rcp_f32_e32 v52, v52                                     // 0000000057EC: 7E684534
	v_rcp_f32_e32 v53, v53                                     // 0000000057F0: 7E6A4535
	v_rcp_f32_e32 v54, v54                                     // 0000000057F4: 7E6C4536
	v_rcp_f32_e32 v55, v55                                     // 0000000057F8: 7E6E4537
	v_mul_f32_e32 v140, v140, v52                              // 0000000057FC: 0B18698C
	v_mul_f32_e32 v141, v141, v53                              // 000000005800: 0B1A6B8D
	v_mul_f32_e32 v142, v142, v54                              // 000000005804: 0B1C6D8E
	v_mul_f32_e32 v143, v143, v55                              // 000000005808: 0B1E6F8F
	v_mul_f32_e32 v140, v140, v76                              // 00000000580C: 0B18998C
	v_mul_f32_e32 v141, v141, v77                              // 000000005810: 0B1A9B8D
	v_mul_f32_e32 v142, v142, v78                              // 000000005814: 0B1C9D8E
	v_mul_f32_e32 v143, v143, v79                              // 000000005818: 0B1E9F8F
	s_waitcnt vmcnt(24)                                        // 00000000581C: BF8C4F78
	buffer_load_dwordx4 a[32:35], v41, s[12:15], 0 offen       // 000000005820: E05C1000 80832029
	v_mul_f32_e32 v52, v144, v144                              // 000000005828: 0A692190
	v_mul_f32_e32 v53, v145, v145                              // 00000000582C: 0A6B2391
	v_mul_f32_e32 v54, v146, v146                              // 000000005830: 0A6D2592
	v_mul_f32_e32 v55, v147, v147                              // 000000005834: 0A6F2793
	v_fma_f32 v52, v52, s77, v1                                // 000000005838: D1CB0034 04049B34
	v_fma_f32 v53, v53, s77, v1                                // 000000005840: D1CB0035 04049B35
	v_fma_f32 v54, v54, s77, v1                                // 000000005848: D1CB0036 04049B36
	v_fma_f32 v55, v55, s77, v1                                // 000000005850: D1CB0037 04049B37
	v_mul_f32_e32 v52, v52, v144                               // 000000005858: 0A692134
	v_mul_f32_e32 v53, v53, v145                               // 00000000585C: 0A6B2335
	v_mul_f32_e32 v54, v54, v146                               // 000000005860: 0A6D2536
	v_mul_f32_e32 v55, v55, v147                               // 000000005864: 0A6F2737
	v_mul_f32_e64 v52, v52, s6                                 // 000000005868: D1050034 00000D34
	v_mul_f32_e64 v53, v53, s6                                 // 000000005870: D1050035 00000D35
	v_mul_f32_e64 v54, v54, s6                                 // 000000005878: D1050036 00000D36
	v_mul_f32_e64 v55, v55, s6                                 // 000000005880: D1050037 00000D37
	v_exp_f32_e32 v52, v52                                     // 000000005888: 7E684134
	v_exp_f32_e32 v53, v53                                     // 00000000588C: 7E6A4135
	v_exp_f32_e32 v54, v54                                     // 000000005890: 7E6C4136
	v_exp_f32_e32 v55, v55                                     // 000000005894: 7E6E4137
	buffer_load_dwordx4 a[36:39], v42, s[12:15], 0 offen       // 000000005898: E05C1000 8083242A
	v_add_f32_e64 v52, v52, 1.0                                // 0000000058A0: D1010034 0001E534
	v_add_f32_e64 v53, v53, 1.0                                // 0000000058A8: D1010035 0001E535
	v_add_f32_e64 v54, v54, 1.0                                // 0000000058B0: D1010036 0001E536
	v_add_f32_e64 v55, v55, 1.0                                // 0000000058B8: D1010037 0001E537
	v_rcp_f32_e32 v52, v52                                     // 0000000058C0: 7E684534
	v_rcp_f32_e32 v53, v53                                     // 0000000058C4: 7E6A4535
	v_rcp_f32_e32 v54, v54                                     // 0000000058C8: 7E6C4536
	v_rcp_f32_e32 v55, v55                                     // 0000000058CC: 7E6E4537
	v_mul_f32_e32 v144, v144, v52                              // 0000000058D0: 0B206990
	v_mul_f32_e32 v145, v145, v53                              // 0000000058D4: 0B226B91
	v_mul_f32_e32 v146, v146, v54                              // 0000000058D8: 0B246D92
	v_mul_f32_e32 v147, v147, v55                              // 0000000058DC: 0B266F93
	v_mul_f32_e32 v144, v144, v80                              // 0000000058E0: 0B20A190
	v_mul_f32_e32 v145, v145, v81                              // 0000000058E4: 0B22A391
	v_mul_f32_e32 v146, v146, v82                              // 0000000058E8: 0B24A592
	v_mul_f32_e32 v147, v147, v83                              // 0000000058EC: 0B26A793
	buffer_load_dwordx4 a[40:43], v43, s[12:15], 0 offen       // 0000000058F0: E05C1000 8083282B
	v_mul_f32_e32 v52, v148, v148                              // 0000000058F8: 0A692994
	v_mul_f32_e32 v53, v149, v149                              // 0000000058FC: 0A6B2B95
	v_mul_f32_e32 v54, v150, v150                              // 000000005900: 0A6D2D96
	v_mul_f32_e32 v55, v151, v151                              // 000000005904: 0A6F2F97
	v_fma_f32 v52, v52, s77, v1                                // 000000005908: D1CB0034 04049B34
	v_fma_f32 v53, v53, s77, v1                                // 000000005910: D1CB0035 04049B35
	v_fma_f32 v54, v54, s77, v1                                // 000000005918: D1CB0036 04049B36
	v_fma_f32 v55, v55, s77, v1                                // 000000005920: D1CB0037 04049B37
	v_mul_f32_e32 v52, v52, v148                               // 000000005928: 0A692934
	v_mul_f32_e32 v53, v53, v149                               // 00000000592C: 0A6B2B35
	v_mul_f32_e32 v54, v54, v150                               // 000000005930: 0A6D2D36
	v_mul_f32_e32 v55, v55, v151                               // 000000005934: 0A6F2F37
	v_mul_f32_e64 v52, v52, s6                                 // 000000005938: D1050034 00000D34
	v_mul_f32_e64 v53, v53, s6                                 // 000000005940: D1050035 00000D35
	v_mul_f32_e64 v54, v54, s6                                 // 000000005948: D1050036 00000D36
	v_mul_f32_e64 v55, v55, s6                                 // 000000005950: D1050037 00000D37
	v_exp_f32_e32 v52, v52                                     // 000000005958: 7E684134
	v_exp_f32_e32 v53, v53                                     // 00000000595C: 7E6A4135
	v_exp_f32_e32 v54, v54                                     // 000000005960: 7E6C4136
	v_exp_f32_e32 v55, v55                                     // 000000005964: 7E6E4137
	buffer_load_dwordx4 a[44:47], v44, s[12:15], 0 offen       // 000000005968: E05C1000 80832C2C
	s_add_u32 s12, s78, s12                                    // 000000005970: 800C0C4E
	s_addc_u32 s13, 0, s13                                     // 000000005974: 820D0D80
	v_add_f32_e64 v52, v52, 1.0                                // 000000005978: D1010034 0001E534
	v_add_f32_e64 v53, v53, 1.0                                // 000000005980: D1010035 0001E535
	v_add_f32_e64 v54, v54, 1.0                                // 000000005988: D1010036 0001E536
	v_add_f32_e64 v55, v55, 1.0                                // 000000005990: D1010037 0001E537
	v_rcp_f32_e32 v52, v52                                     // 000000005998: 7E684534
	v_rcp_f32_e32 v53, v53                                     // 00000000599C: 7E6A4535
	v_rcp_f32_e32 v54, v54                                     // 0000000059A0: 7E6C4536
	v_rcp_f32_e32 v55, v55                                     // 0000000059A4: 7E6E4537
	v_mul_f32_e32 v148, v148, v52                              // 0000000059A8: 0B286994
	v_mul_f32_e32 v149, v149, v53                              // 0000000059AC: 0B2A6B95
	v_mul_f32_e32 v150, v150, v54                              // 0000000059B0: 0B2C6D96
	v_mul_f32_e32 v151, v151, v55                              // 0000000059B4: 0B2E6F97
	v_mul_f32_e32 v148, v148, v84                              // 0000000059B8: 0B28A994
	v_mul_f32_e32 v149, v149, v85                              // 0000000059BC: 0B2AAB95
	v_mul_f32_e32 v150, v150, v86                              // 0000000059C0: 0B2CAD96
	v_mul_f32_e32 v151, v151, v87                              // 0000000059C4: 0B2EAF97
	s_waitcnt vmcnt(24)                                        // 0000000059C8: BF8C4F78
	buffer_load_dwordx4 a[48:51], v41, s[12:15], 0 offen       // 0000000059CC: E05C1000 80833029
	v_mul_f32_e32 v52, v152, v152                              // 0000000059D4: 0A693198
	v_mul_f32_e32 v53, v153, v153                              // 0000000059D8: 0A6B3399
	v_mul_f32_e32 v54, v154, v154                              // 0000000059DC: 0A6D359A
	v_mul_f32_e32 v55, v155, v155                              // 0000000059E0: 0A6F379B
	v_fma_f32 v52, v52, s77, v1                                // 0000000059E4: D1CB0034 04049B34
	v_fma_f32 v53, v53, s77, v1                                // 0000000059EC: D1CB0035 04049B35
	v_fma_f32 v54, v54, s77, v1                                // 0000000059F4: D1CB0036 04049B36
	v_fma_f32 v55, v55, s77, v1                                // 0000000059FC: D1CB0037 04049B37
	v_mul_f32_e32 v52, v52, v152                               // 000000005A04: 0A693134
	v_mul_f32_e32 v53, v53, v153                               // 000000005A08: 0A6B3335
	v_mul_f32_e32 v54, v54, v154                               // 000000005A0C: 0A6D3536
	v_mul_f32_e32 v55, v55, v155                               // 000000005A10: 0A6F3737
	v_mul_f32_e64 v52, v52, s6                                 // 000000005A14: D1050034 00000D34
	v_mul_f32_e64 v53, v53, s6                                 // 000000005A1C: D1050035 00000D35
	v_mul_f32_e64 v54, v54, s6                                 // 000000005A24: D1050036 00000D36
	v_mul_f32_e64 v55, v55, s6                                 // 000000005A2C: D1050037 00000D37
	v_exp_f32_e32 v52, v52                                     // 000000005A34: 7E684134
	v_exp_f32_e32 v53, v53                                     // 000000005A38: 7E6A4135
	v_exp_f32_e32 v54, v54                                     // 000000005A3C: 7E6C4136
	v_exp_f32_e32 v55, v55                                     // 000000005A40: 7E6E4137
	buffer_load_dwordx4 a[52:55], v42, s[12:15], 0 offen       // 000000005A44: E05C1000 8083342A
	v_add_f32_e64 v52, v52, 1.0                                // 000000005A4C: D1010034 0001E534
	v_add_f32_e64 v53, v53, 1.0                                // 000000005A54: D1010035 0001E535
	v_add_f32_e64 v54, v54, 1.0                                // 000000005A5C: D1010036 0001E536
	v_add_f32_e64 v55, v55, 1.0                                // 000000005A64: D1010037 0001E537
	v_rcp_f32_e32 v52, v52                                     // 000000005A6C: 7E684534
	v_rcp_f32_e32 v53, v53                                     // 000000005A70: 7E6A4535
	v_rcp_f32_e32 v54, v54                                     // 000000005A74: 7E6C4536
	v_rcp_f32_e32 v55, v55                                     // 000000005A78: 7E6E4537
	v_mul_f32_e32 v152, v152, v52                              // 000000005A7C: 0B306998
	v_mul_f32_e32 v153, v153, v53                              // 000000005A80: 0B326B99
	v_mul_f32_e32 v154, v154, v54                              // 000000005A84: 0B346D9A
	v_mul_f32_e32 v155, v155, v55                              // 000000005A88: 0B366F9B
	v_mul_f32_e32 v152, v152, v88                              // 000000005A8C: 0B30B198
	v_mul_f32_e32 v153, v153, v89                              // 000000005A90: 0B32B399
	v_mul_f32_e32 v154, v154, v90                              // 000000005A94: 0B34B59A
	v_mul_f32_e32 v155, v155, v91                              // 000000005A98: 0B36B79B
	buffer_load_dwordx4 a[56:59], v43, s[12:15], 0 offen       // 000000005A9C: E05C1000 8083382B
	v_mul_f32_e32 v52, v156, v156                              // 000000005AA4: 0A69399C
	v_mul_f32_e32 v53, v157, v157                              // 000000005AA8: 0A6B3B9D
	v_mul_f32_e32 v54, v158, v158                              // 000000005AAC: 0A6D3D9E
	v_mul_f32_e32 v55, v159, v159                              // 000000005AB0: 0A6F3F9F
	v_fma_f32 v52, v52, s77, v1                                // 000000005AB4: D1CB0034 04049B34
	v_fma_f32 v53, v53, s77, v1                                // 000000005ABC: D1CB0035 04049B35
	v_fma_f32 v54, v54, s77, v1                                // 000000005AC4: D1CB0036 04049B36
	v_fma_f32 v55, v55, s77, v1                                // 000000005ACC: D1CB0037 04049B37
	v_mul_f32_e32 v52, v52, v156                               // 000000005AD4: 0A693934
	v_mul_f32_e32 v53, v53, v157                               // 000000005AD8: 0A6B3B35
	v_mul_f32_e32 v54, v54, v158                               // 000000005ADC: 0A6D3D36
	v_mul_f32_e32 v55, v55, v159                               // 000000005AE0: 0A6F3F37
	v_mul_f32_e64 v52, v52, s6                                 // 000000005AE4: D1050034 00000D34
	v_mul_f32_e64 v53, v53, s6                                 // 000000005AEC: D1050035 00000D35
	v_mul_f32_e64 v54, v54, s6                                 // 000000005AF4: D1050036 00000D36
	v_mul_f32_e64 v55, v55, s6                                 // 000000005AFC: D1050037 00000D37
	v_exp_f32_e32 v52, v52                                     // 000000005B04: 7E684134
	v_exp_f32_e32 v53, v53                                     // 000000005B08: 7E6A4135
	v_exp_f32_e32 v54, v54                                     // 000000005B0C: 7E6C4136
	v_exp_f32_e32 v55, v55                                     // 000000005B10: 7E6E4137
	buffer_load_dwordx4 a[60:63], v44, s[12:15], 0 offen       // 000000005B14: E05C1000 80833C2C
	s_add_u32 s12, s78, s12                                    // 000000005B1C: 800C0C4E
	s_addc_u32 s13, 0, s13                                     // 000000005B20: 820D0D80
	v_add_f32_e64 v52, v52, 1.0                                // 000000005B24: D1010034 0001E534
	v_add_f32_e64 v53, v53, 1.0                                // 000000005B2C: D1010035 0001E535
	v_add_f32_e64 v54, v54, 1.0                                // 000000005B34: D1010036 0001E536
	v_add_f32_e64 v55, v55, 1.0                                // 000000005B3C: D1010037 0001E537
	v_rcp_f32_e32 v52, v52                                     // 000000005B44: 7E684534
	v_rcp_f32_e32 v53, v53                                     // 000000005B48: 7E6A4535
	v_rcp_f32_e32 v54, v54                                     // 000000005B4C: 7E6C4536
	v_rcp_f32_e32 v55, v55                                     // 000000005B50: 7E6E4537
	v_mul_f32_e32 v156, v156, v52                              // 000000005B54: 0B38699C
	v_mul_f32_e32 v157, v157, v53                              // 000000005B58: 0B3A6B9D
	v_mul_f32_e32 v158, v158, v54                              // 000000005B5C: 0B3C6D9E
	v_mul_f32_e32 v159, v159, v55                              // 000000005B60: 0B3E6F9F
	v_mul_f32_e32 v156, v156, v92                              // 000000005B64: 0B38B99C
	v_mul_f32_e32 v157, v157, v93                              // 000000005B68: 0B3ABB9D
	v_mul_f32_e32 v158, v158, v94                              // 000000005B6C: 0B3CBD9E
	v_mul_f32_e32 v159, v159, v95                              // 000000005B70: 0B3EBF9F
	s_waitcnt vmcnt(24)                                        // 000000005B74: BF8C4F78
	buffer_load_dwordx4 a[64:67], v41, s[12:15], 0 offen       // 000000005B78: E05C1000 80834029
	v_mul_f32_e32 v52, v160, v160                              // 000000005B80: 0A6941A0
	v_mul_f32_e32 v53, v161, v161                              // 000000005B84: 0A6B43A1
	v_mul_f32_e32 v54, v162, v162                              // 000000005B88: 0A6D45A2
	v_mul_f32_e32 v55, v163, v163                              // 000000005B8C: 0A6F47A3
	v_fma_f32 v52, v52, s77, v1                                // 000000005B90: D1CB0034 04049B34
	v_fma_f32 v53, v53, s77, v1                                // 000000005B98: D1CB0035 04049B35
	v_fma_f32 v54, v54, s77, v1                                // 000000005BA0: D1CB0036 04049B36
	v_fma_f32 v55, v55, s77, v1                                // 000000005BA8: D1CB0037 04049B37
	v_mul_f32_e32 v52, v52, v160                               // 000000005BB0: 0A694134
	v_mul_f32_e32 v53, v53, v161                               // 000000005BB4: 0A6B4335
	v_mul_f32_e32 v54, v54, v162                               // 000000005BB8: 0A6D4536
	v_mul_f32_e32 v55, v55, v163                               // 000000005BBC: 0A6F4737
	v_mul_f32_e64 v52, v52, s6                                 // 000000005BC0: D1050034 00000D34
	v_mul_f32_e64 v53, v53, s6                                 // 000000005BC8: D1050035 00000D35
	v_mul_f32_e64 v54, v54, s6                                 // 000000005BD0: D1050036 00000D36
	v_mul_f32_e64 v55, v55, s6                                 // 000000005BD8: D1050037 00000D37
	v_exp_f32_e32 v52, v52                                     // 000000005BE0: 7E684134
	v_exp_f32_e32 v53, v53                                     // 000000005BE4: 7E6A4135
	v_exp_f32_e32 v54, v54                                     // 000000005BE8: 7E6C4136
	v_exp_f32_e32 v55, v55                                     // 000000005BEC: 7E6E4137
	buffer_load_dwordx4 a[68:71], v42, s[12:15], 0 offen       // 000000005BF0: E05C1000 8083442A
	v_add_f32_e64 v52, v52, 1.0                                // 000000005BF8: D1010034 0001E534
	v_add_f32_e64 v53, v53, 1.0                                // 000000005C00: D1010035 0001E535
	v_add_f32_e64 v54, v54, 1.0                                // 000000005C08: D1010036 0001E536
	v_add_f32_e64 v55, v55, 1.0                                // 000000005C10: D1010037 0001E537
	v_rcp_f32_e32 v52, v52                                     // 000000005C18: 7E684534
	v_rcp_f32_e32 v53, v53                                     // 000000005C1C: 7E6A4535
	v_rcp_f32_e32 v54, v54                                     // 000000005C20: 7E6C4536
	v_rcp_f32_e32 v55, v55                                     // 000000005C24: 7E6E4537
	v_mul_f32_e32 v160, v160, v52                              // 000000005C28: 0B4069A0
	v_mul_f32_e32 v161, v161, v53                              // 000000005C2C: 0B426BA1
	v_mul_f32_e32 v162, v162, v54                              // 000000005C30: 0B446DA2
	v_mul_f32_e32 v163, v163, v55                              // 000000005C34: 0B466FA3
	v_mul_f32_e32 v160, v160, v96                              // 000000005C38: 0B40C1A0
	v_mul_f32_e32 v161, v161, v97                              // 000000005C3C: 0B42C3A1
	v_mul_f32_e32 v162, v162, v98                              // 000000005C40: 0B44C5A2
	v_mul_f32_e32 v163, v163, v99                              // 000000005C44: 0B46C7A3
	buffer_load_dwordx4 a[72:75], v43, s[12:15], 0 offen       // 000000005C48: E05C1000 8083482B
	v_mul_f32_e32 v52, v164, v164                              // 000000005C50: 0A6949A4
	v_mul_f32_e32 v53, v165, v165                              // 000000005C54: 0A6B4BA5
	v_mul_f32_e32 v54, v166, v166                              // 000000005C58: 0A6D4DA6
	v_mul_f32_e32 v55, v167, v167                              // 000000005C5C: 0A6F4FA7
	v_fma_f32 v52, v52, s77, v1                                // 000000005C60: D1CB0034 04049B34
	v_fma_f32 v53, v53, s77, v1                                // 000000005C68: D1CB0035 04049B35
	v_fma_f32 v54, v54, s77, v1                                // 000000005C70: D1CB0036 04049B36
	v_fma_f32 v55, v55, s77, v1                                // 000000005C78: D1CB0037 04049B37
	v_mul_f32_e32 v52, v52, v164                               // 000000005C80: 0A694934
	v_mul_f32_e32 v53, v53, v165                               // 000000005C84: 0A6B4B35
	v_mul_f32_e32 v54, v54, v166                               // 000000005C88: 0A6D4D36
	v_mul_f32_e32 v55, v55, v167                               // 000000005C8C: 0A6F4F37
	v_mul_f32_e64 v52, v52, s6                                 // 000000005C90: D1050034 00000D34
	v_mul_f32_e64 v53, v53, s6                                 // 000000005C98: D1050035 00000D35
	v_mul_f32_e64 v54, v54, s6                                 // 000000005CA0: D1050036 00000D36
	v_mul_f32_e64 v55, v55, s6                                 // 000000005CA8: D1050037 00000D37
	v_exp_f32_e32 v52, v52                                     // 000000005CB0: 7E684134
	v_exp_f32_e32 v53, v53                                     // 000000005CB4: 7E6A4135
	v_exp_f32_e32 v54, v54                                     // 000000005CB8: 7E6C4136
	v_exp_f32_e32 v55, v55                                     // 000000005CBC: 7E6E4137
	buffer_load_dwordx4 a[76:79], v44, s[12:15], 0 offen       // 000000005CC0: E05C1000 80834C2C
	s_add_u32 s12, s78, s12                                    // 000000005CC8: 800C0C4E
	s_addc_u32 s13, 0, s13                                     // 000000005CCC: 820D0D80
	v_add_f32_e64 v52, v52, 1.0                                // 000000005CD0: D1010034 0001E534
	v_add_f32_e64 v53, v53, 1.0                                // 000000005CD8: D1010035 0001E535
	v_add_f32_e64 v54, v54, 1.0                                // 000000005CE0: D1010036 0001E536
	v_add_f32_e64 v55, v55, 1.0                                // 000000005CE8: D1010037 0001E537
	v_rcp_f32_e32 v52, v52                                     // 000000005CF0: 7E684534
	v_rcp_f32_e32 v53, v53                                     // 000000005CF4: 7E6A4535
	v_rcp_f32_e32 v54, v54                                     // 000000005CF8: 7E6C4536
	v_rcp_f32_e32 v55, v55                                     // 000000005CFC: 7E6E4537
	v_mul_f32_e32 v164, v164, v52                              // 000000005D00: 0B4869A4
	v_mul_f32_e32 v165, v165, v53                              // 000000005D04: 0B4A6BA5
	v_mul_f32_e32 v166, v166, v54                              // 000000005D08: 0B4C6DA6
	v_mul_f32_e32 v167, v167, v55                              // 000000005D0C: 0B4E6FA7
	v_mul_f32_e32 v164, v164, v100                             // 000000005D10: 0B48C9A4
	v_mul_f32_e32 v165, v165, v101                             // 000000005D14: 0B4ACBA5
	v_mul_f32_e32 v166, v166, v102                             // 000000005D18: 0B4CCDA6
	v_mul_f32_e32 v167, v167, v103                             // 000000005D1C: 0B4ECFA7
	s_waitcnt vmcnt(24)                                        // 000000005D20: BF8C4F78
	buffer_load_dwordx4 a[80:83], v41, s[12:15], 0 offen       // 000000005D24: E05C1000 80835029
	v_mul_f32_e32 v52, v168, v168                              // 000000005D2C: 0A6951A8
	v_mul_f32_e32 v53, v169, v169                              // 000000005D30: 0A6B53A9
	v_mul_f32_e32 v54, v170, v170                              // 000000005D34: 0A6D55AA
	v_mul_f32_e32 v55, v171, v171                              // 000000005D38: 0A6F57AB
	v_fma_f32 v52, v52, s77, v1                                // 000000005D3C: D1CB0034 04049B34
	v_fma_f32 v53, v53, s77, v1                                // 000000005D44: D1CB0035 04049B35
	v_fma_f32 v54, v54, s77, v1                                // 000000005D4C: D1CB0036 04049B36
	v_fma_f32 v55, v55, s77, v1                                // 000000005D54: D1CB0037 04049B37
	v_mul_f32_e32 v52, v52, v168                               // 000000005D5C: 0A695134
	v_mul_f32_e32 v53, v53, v169                               // 000000005D60: 0A6B5335
	v_mul_f32_e32 v54, v54, v170                               // 000000005D64: 0A6D5536
	v_mul_f32_e32 v55, v55, v171                               // 000000005D68: 0A6F5737
	v_mul_f32_e64 v52, v52, s6                                 // 000000005D6C: D1050034 00000D34
	v_mul_f32_e64 v53, v53, s6                                 // 000000005D74: D1050035 00000D35
	v_mul_f32_e64 v54, v54, s6                                 // 000000005D7C: D1050036 00000D36
	v_mul_f32_e64 v55, v55, s6                                 // 000000005D84: D1050037 00000D37
	v_exp_f32_e32 v52, v52                                     // 000000005D8C: 7E684134
	v_exp_f32_e32 v53, v53                                     // 000000005D90: 7E6A4135
	v_exp_f32_e32 v54, v54                                     // 000000005D94: 7E6C4136
	v_exp_f32_e32 v55, v55                                     // 000000005D98: 7E6E4137
	buffer_load_dwordx4 a[84:87], v42, s[12:15], 0 offen       // 000000005D9C: E05C1000 8083542A
	v_add_f32_e64 v52, v52, 1.0                                // 000000005DA4: D1010034 0001E534
	v_add_f32_e64 v53, v53, 1.0                                // 000000005DAC: D1010035 0001E535
	v_add_f32_e64 v54, v54, 1.0                                // 000000005DB4: D1010036 0001E536
	v_add_f32_e64 v55, v55, 1.0                                // 000000005DBC: D1010037 0001E537
	v_rcp_f32_e32 v52, v52                                     // 000000005DC4: 7E684534
	v_rcp_f32_e32 v53, v53                                     // 000000005DC8: 7E6A4535
	v_rcp_f32_e32 v54, v54                                     // 000000005DCC: 7E6C4536
	v_rcp_f32_e32 v55, v55                                     // 000000005DD0: 7E6E4537
	v_mul_f32_e32 v168, v168, v52                              // 000000005DD4: 0B5069A8
	v_mul_f32_e32 v169, v169, v53                              // 000000005DD8: 0B526BA9
	v_mul_f32_e32 v170, v170, v54                              // 000000005DDC: 0B546DAA
	v_mul_f32_e32 v171, v171, v55                              // 000000005DE0: 0B566FAB
	v_mul_f32_e32 v168, v168, v104                             // 000000005DE4: 0B50D1A8
	v_mul_f32_e32 v169, v169, v105                             // 000000005DE8: 0B52D3A9
	v_mul_f32_e32 v170, v170, v106                             // 000000005DEC: 0B54D5AA
	v_mul_f32_e32 v171, v171, v107                             // 000000005DF0: 0B56D7AB
	buffer_load_dwordx4 a[88:91], v43, s[12:15], 0 offen       // 000000005DF4: E05C1000 8083582B
	v_mul_f32_e32 v52, v172, v172                              // 000000005DFC: 0A6959AC
	v_mul_f32_e32 v53, v173, v173                              // 000000005E00: 0A6B5BAD
	v_mul_f32_e32 v54, v174, v174                              // 000000005E04: 0A6D5DAE
	v_mul_f32_e32 v55, v175, v175                              // 000000005E08: 0A6F5FAF
	v_fma_f32 v52, v52, s77, v1                                // 000000005E0C: D1CB0034 04049B34
	v_fma_f32 v53, v53, s77, v1                                // 000000005E14: D1CB0035 04049B35
	v_fma_f32 v54, v54, s77, v1                                // 000000005E1C: D1CB0036 04049B36
	v_fma_f32 v55, v55, s77, v1                                // 000000005E24: D1CB0037 04049B37
	v_mul_f32_e32 v52, v52, v172                               // 000000005E2C: 0A695934
	v_mul_f32_e32 v53, v53, v173                               // 000000005E30: 0A6B5B35
	v_mul_f32_e32 v54, v54, v174                               // 000000005E34: 0A6D5D36
	v_mul_f32_e32 v55, v55, v175                               // 000000005E38: 0A6F5F37
	v_mul_f32_e64 v52, v52, s6                                 // 000000005E3C: D1050034 00000D34
	v_mul_f32_e64 v53, v53, s6                                 // 000000005E44: D1050035 00000D35
	v_mul_f32_e64 v54, v54, s6                                 // 000000005E4C: D1050036 00000D36
	v_mul_f32_e64 v55, v55, s6                                 // 000000005E54: D1050037 00000D37
	v_exp_f32_e32 v52, v52                                     // 000000005E5C: 7E684134
	v_exp_f32_e32 v53, v53                                     // 000000005E60: 7E6A4135
	v_exp_f32_e32 v54, v54                                     // 000000005E64: 7E6C4136
	v_exp_f32_e32 v55, v55                                     // 000000005E68: 7E6E4137
	buffer_load_dwordx4 a[92:95], v44, s[12:15], 0 offen       // 000000005E6C: E05C1000 80835C2C
	s_add_u32 s12, s78, s12                                    // 000000005E74: 800C0C4E
	s_addc_u32 s13, 0, s13                                     // 000000005E78: 820D0D80
	v_add_f32_e64 v52, v52, 1.0                                // 000000005E7C: D1010034 0001E534
	v_add_f32_e64 v53, v53, 1.0                                // 000000005E84: D1010035 0001E535
	v_add_f32_e64 v54, v54, 1.0                                // 000000005E8C: D1010036 0001E536
	v_add_f32_e64 v55, v55, 1.0                                // 000000005E94: D1010037 0001E537
	v_rcp_f32_e32 v52, v52                                     // 000000005E9C: 7E684534
	v_rcp_f32_e32 v53, v53                                     // 000000005EA0: 7E6A4535
	v_rcp_f32_e32 v54, v54                                     // 000000005EA4: 7E6C4536
	v_rcp_f32_e32 v55, v55                                     // 000000005EA8: 7E6E4537
	v_mul_f32_e32 v172, v172, v52                              // 000000005EAC: 0B5869AC
	v_mul_f32_e32 v173, v173, v53                              // 000000005EB0: 0B5A6BAD
	v_mul_f32_e32 v174, v174, v54                              // 000000005EB4: 0B5C6DAE
	v_mul_f32_e32 v175, v175, v55                              // 000000005EB8: 0B5E6FAF
	v_mul_f32_e32 v172, v172, v108                             // 000000005EBC: 0B58D9AC
	v_mul_f32_e32 v173, v173, v109                             // 000000005EC0: 0B5ADBAD
	v_mul_f32_e32 v174, v174, v110                             // 000000005EC4: 0B5CDDAE
	v_mul_f32_e32 v175, v175, v111                             // 000000005EC8: 0B5EDFAF
	s_waitcnt vmcnt(24)                                        // 000000005ECC: BF8C4F78
	buffer_load_dwordx4 a[96:99], v41, s[12:15], 0 offen       // 000000005ED0: E05C1000 80836029
	v_mul_f32_e32 v52, v176, v176                              // 000000005ED8: 0A6961B0
	v_mul_f32_e32 v53, v177, v177                              // 000000005EDC: 0A6B63B1
	v_mul_f32_e32 v54, v178, v178                              // 000000005EE0: 0A6D65B2
	v_mul_f32_e32 v55, v179, v179                              // 000000005EE4: 0A6F67B3
	v_fma_f32 v52, v52, s77, v1                                // 000000005EE8: D1CB0034 04049B34
	v_fma_f32 v53, v53, s77, v1                                // 000000005EF0: D1CB0035 04049B35
	v_fma_f32 v54, v54, s77, v1                                // 000000005EF8: D1CB0036 04049B36
	v_fma_f32 v55, v55, s77, v1                                // 000000005F00: D1CB0037 04049B37
	v_mul_f32_e32 v52, v52, v176                               // 000000005F08: 0A696134
	v_mul_f32_e32 v53, v53, v177                               // 000000005F0C: 0A6B6335
	v_mul_f32_e32 v54, v54, v178                               // 000000005F10: 0A6D6536
	v_mul_f32_e32 v55, v55, v179                               // 000000005F14: 0A6F6737
	v_mul_f32_e64 v52, v52, s6                                 // 000000005F18: D1050034 00000D34
	v_mul_f32_e64 v53, v53, s6                                 // 000000005F20: D1050035 00000D35
	v_mul_f32_e64 v54, v54, s6                                 // 000000005F28: D1050036 00000D36
	v_mul_f32_e64 v55, v55, s6                                 // 000000005F30: D1050037 00000D37
	v_exp_f32_e32 v52, v52                                     // 000000005F38: 7E684134
	v_exp_f32_e32 v53, v53                                     // 000000005F3C: 7E6A4135
	v_exp_f32_e32 v54, v54                                     // 000000005F40: 7E6C4136
	v_exp_f32_e32 v55, v55                                     // 000000005F44: 7E6E4137
	buffer_load_dwordx4 a[100:103], v42, s[12:15], 0 offen     // 000000005F48: E05C1000 8083642A
	v_add_f32_e64 v52, v52, 1.0                                // 000000005F50: D1010034 0001E534
	v_add_f32_e64 v53, v53, 1.0                                // 000000005F58: D1010035 0001E535
	v_add_f32_e64 v54, v54, 1.0                                // 000000005F60: D1010036 0001E536
	v_add_f32_e64 v55, v55, 1.0                                // 000000005F68: D1010037 0001E537
	v_rcp_f32_e32 v52, v52                                     // 000000005F70: 7E684534
	v_rcp_f32_e32 v53, v53                                     // 000000005F74: 7E6A4535
	v_rcp_f32_e32 v54, v54                                     // 000000005F78: 7E6C4536
	v_rcp_f32_e32 v55, v55                                     // 000000005F7C: 7E6E4537
	v_mul_f32_e32 v176, v176, v52                              // 000000005F80: 0B6069B0
	v_mul_f32_e32 v177, v177, v53                              // 000000005F84: 0B626BB1
	v_mul_f32_e32 v178, v178, v54                              // 000000005F88: 0B646DB2
	v_mul_f32_e32 v179, v179, v55                              // 000000005F8C: 0B666FB3
	v_mul_f32_e32 v176, v176, v112                             // 000000005F90: 0B60E1B0
	v_mul_f32_e32 v177, v177, v113                             // 000000005F94: 0B62E3B1
	v_mul_f32_e32 v178, v178, v114                             // 000000005F98: 0B64E5B2
	v_mul_f32_e32 v179, v179, v115                             // 000000005F9C: 0B66E7B3
	buffer_load_dwordx4 a[104:107], v43, s[12:15], 0 offen     // 000000005FA0: E05C1000 8083682B
	v_mul_f32_e32 v52, v180, v180                              // 000000005FA8: 0A6969B4
	v_mul_f32_e32 v53, v181, v181                              // 000000005FAC: 0A6B6BB5
	v_mul_f32_e32 v54, v182, v182                              // 000000005FB0: 0A6D6DB6
	v_mul_f32_e32 v55, v183, v183                              // 000000005FB4: 0A6F6FB7
	v_fma_f32 v52, v52, s77, v1                                // 000000005FB8: D1CB0034 04049B34
	v_fma_f32 v53, v53, s77, v1                                // 000000005FC0: D1CB0035 04049B35
	v_fma_f32 v54, v54, s77, v1                                // 000000005FC8: D1CB0036 04049B36
	v_fma_f32 v55, v55, s77, v1                                // 000000005FD0: D1CB0037 04049B37
	v_mul_f32_e32 v52, v52, v180                               // 000000005FD8: 0A696934
	v_mul_f32_e32 v53, v53, v181                               // 000000005FDC: 0A6B6B35
	v_mul_f32_e32 v54, v54, v182                               // 000000005FE0: 0A6D6D36
	v_mul_f32_e32 v55, v55, v183                               // 000000005FE4: 0A6F6F37
	v_mul_f32_e64 v52, v52, s6                                 // 000000005FE8: D1050034 00000D34
	v_mul_f32_e64 v53, v53, s6                                 // 000000005FF0: D1050035 00000D35
	v_mul_f32_e64 v54, v54, s6                                 // 000000005FF8: D1050036 00000D36
	v_mul_f32_e64 v55, v55, s6                                 // 000000006000: D1050037 00000D37
	v_exp_f32_e32 v52, v52                                     // 000000006008: 7E684134
	v_exp_f32_e32 v53, v53                                     // 00000000600C: 7E6A4135
	v_exp_f32_e32 v54, v54                                     // 000000006010: 7E6C4136
	v_exp_f32_e32 v55, v55                                     // 000000006014: 7E6E4137
	buffer_load_dwordx4 a[108:111], v44, s[12:15], 0 offen     // 000000006018: E05C1000 80836C2C
	v_add_f32_e64 v52, v52, 1.0                                // 000000006020: D1010034 0001E534
	v_add_f32_e64 v53, v53, 1.0                                // 000000006028: D1010035 0001E535
	v_add_f32_e64 v54, v54, 1.0                                // 000000006030: D1010036 0001E536
	v_add_f32_e64 v55, v55, 1.0                                // 000000006038: D1010037 0001E537
	v_rcp_f32_e32 v52, v52                                     // 000000006040: 7E684534
	v_rcp_f32_e32 v53, v53                                     // 000000006044: 7E6A4535
	v_rcp_f32_e32 v54, v54                                     // 000000006048: 7E6C4536
	v_rcp_f32_e32 v55, v55                                     // 00000000604C: 7E6E4537
	v_mul_f32_e32 v180, v180, v52                              // 000000006050: 0B6869B4
	v_mul_f32_e32 v181, v181, v53                              // 000000006054: 0B6A6BB5
	v_mul_f32_e32 v182, v182, v54                              // 000000006058: 0B6C6DB6
	v_mul_f32_e32 v183, v183, v55                              // 00000000605C: 0B6E6FB7
	v_mul_f32_e32 v180, v180, v116                             // 000000006060: 0B68E9B4
	v_mul_f32_e32 v181, v181, v117                             // 000000006064: 0B6AEBB5
	v_mul_f32_e32 v182, v182, v118                             // 000000006068: 0B6CEDB6
	v_mul_f32_e32 v183, v183, v119                             // 00000000606C: 0B6EEFB7
	v_lshlrev_b32_e32 v52, 2, v0                               // 000000006070: 24680082
	s_mul_i32 s60, s82, s71                                    // 000000006074: 923C4752
	v_add_u32_e64 v80, v52, s60                                // 000000006078: D1340050 00007934
	v_mov_b32_e32 v81, 0                                       // 000000006080: 7EA20280
	s_mul_i32 s60, s83, s71                                    // 000000006084: 923C4753
	v_add_u32_e64 v82, v52, s60                                // 000000006088: D1340052 00007934
	v_mov_b32_e32 v83, 0                                       // 000000006090: 7EA60280
	s_mul_i32 s60, s84, s71                                    // 000000006094: 923C4754
	v_add_u32_e64 v84, v52, s60                                // 000000006098: D1340054 00007934
	v_mov_b32_e32 v85, 0                                       // 0000000060A0: 7EAA0280
	s_mul_i32 s60, s85, s71                                    // 0000000060A4: 923C4755
	v_add_u32_e64 v86, v52, s60                                // 0000000060A8: D1340056 00007934
	v_mov_b32_e32 v87, 0                                       // 0000000060B0: 7EAE0280
	s_mul_i32 s60, s86, s71                                    // 0000000060B4: 923C4756
	v_add_u32_e64 v88, v52, s60                                // 0000000060B8: D1340058 00007934
	v_mov_b32_e32 v89, 0                                       // 0000000060C0: 7EB20280
	s_mul_i32 s60, s87, s71                                    // 0000000060C4: 923C4757
	v_add_u32_e64 v90, v52, s60                                // 0000000060C8: D134005A 00007934
	v_mov_b32_e32 v91, 0                                       // 0000000060D0: 7EB60280
	s_mul_i32 s60, s88, s71                                    // 0000000060D4: 923C4758
	v_add_u32_e64 v92, v52, s60                                // 0000000060D8: D134005C 00007934
	v_mov_b32_e32 v93, 0                                       // 0000000060E0: 7EBA0280
	s_mul_i32 s60, s89, s71                                    // 0000000060E4: 923C4759
	v_add_u32_e64 v94, v52, s60                                // 0000000060E8: D134005E 00007934
	v_mov_b32_e32 v95, 0                                       // 0000000060F0: 7EBE0280
	buffer_load_dword v12, v5, s[16:19], 0 offen               // 0000000060F4: E0501000 80040C05
	v_mov_b32_e32 v22, 0x358637bd                              // 0000000060FC: 7E2C02FF 358637BD
	v_mov_b32_e32 v23, 0x358637bd                              // 000000006104: 7E2E02FF 358637BD
	v_max3_f32 v22, |v128|, |v129|, v22                        // 00000000610C: D1D30316 045B0380
	v_max3_f32 v22, |v130|, |v131|, v22                        // 000000006114: D1D30316 045B0782
	v_max3_f32 v23, |v132|, |v133|, v23                        // 00000000611C: D1D30317 045F0B84
	v_max3_f32 v23, |v134|, |v135|, v23                        // 000000006124: D1D30317 045F0F86
	v_max3_f32 v22, |v136|, |v137|, v22                        // 00000000612C: D1D30316 045B1388
	v_max3_f32 v22, |v138|, |v139|, v22                        // 000000006134: D1D30316 045B178A
	v_max3_f32 v23, |v140|, |v141|, v23                        // 00000000613C: D1D30317 045F1B8C
	v_max3_f32 v23, |v142|, |v143|, v23                        // 000000006144: D1D30317 045F1F8E
	v_max3_f32 v22, |v144|, |v145|, v22                        // 00000000614C: D1D30316 045B2390
	v_max3_f32 v22, |v146|, |v147|, v22                        // 000000006154: D1D30316 045B2792
	v_max3_f32 v23, |v148|, |v149|, v23                        // 00000000615C: D1D30317 045F2B94
	v_max3_f32 v23, |v150|, |v151|, v23                        // 000000006164: D1D30317 045F2F96
	v_max3_f32 v22, |v152|, |v153|, v22                        // 00000000616C: D1D30316 045B3398
	v_max3_f32 v22, |v154|, |v155|, v22                        // 000000006174: D1D30316 045B379A
	v_max3_f32 v23, |v156|, |v157|, v23                        // 00000000617C: D1D30317 045F3B9C
	v_max3_f32 v23, |v158|, |v159|, v23                        // 000000006184: D1D30317 045F3F9E
	v_max3_f32 v22, |v160|, |v161|, v22                        // 00000000618C: D1D30316 045B43A0
	v_max3_f32 v22, |v162|, |v163|, v22                        // 000000006194: D1D30316 045B47A2
	v_max3_f32 v23, |v164|, |v165|, v23                        // 00000000619C: D1D30317 045F4BA4
	v_max3_f32 v23, |v166|, |v167|, v23                        // 0000000061A4: D1D30317 045F4FA6
	v_max3_f32 v22, |v168|, |v169|, v22                        // 0000000061AC: D1D30316 045B53A8
	v_max3_f32 v22, |v170|, |v171|, v22                        // 0000000061B4: D1D30316 045B57AA
	v_max3_f32 v23, |v172|, |v173|, v23                        // 0000000061BC: D1D30317 045F5BAC
	v_max3_f32 v23, |v174|, |v175|, v23                        // 0000000061C4: D1D30317 045F5FAE
	v_max3_f32 v22, |v176|, |v177|, v22                        // 0000000061CC: D1D30316 045B63B0
	v_max3_f32 v22, |v178|, |v179|, v22                        // 0000000061D4: D1D30316 045B67B2
	v_max3_f32 v23, |v180|, |v181|, v23                        // 0000000061DC: D1D30317 045F6BB4
	v_max3_f32 v23, |v182|, |v183|, v23                        // 0000000061E4: D1D30317 045F6FB6
	v_lshlrev_b32_e32 v52, 3, v0                               // 0000000061EC: 24680083
	s_mul_i32 s60, 0x200, s7                                   // 0000000061F0: 923C07FF 00000200
	v_add_u32_e32 v52, s60, v52                                // 0000000061F8: 6868683C
	ds_write_b64 v52, v[22:23] offset:16640                    // 0000000061FC: D89A4100 00001634
	s_waitcnt lgkmcnt(0)                                       // 000000006204: BF8CC07F
	s_barrier                                                  // 000000006208: BF8A0000
	v_and_b32_e32 v52, 15, v0                                  // 00000000620C: 2668008F
	v_lshlrev_b32_e32 v52, 3, v52                              // 000000006210: 24686883
	ds_read_b64 v[96:97], v52 offset:16640                     // 000000006214: D8EC4100 60000034
	ds_read_b64 v[98:99], v52 offset:16768                     // 00000000621C: D8EC4180 62000034
	ds_read_b64 v[100:101], v52 offset:16896                   // 000000006224: D8EC4200 64000034
	ds_read_b64 v[102:103], v52 offset:17024                   // 00000000622C: D8EC4280 66000034
	ds_read_b64 v[104:105], v52 offset:17152                   // 000000006234: D8EC4300 68000034
	ds_read_b64 v[106:107], v52 offset:17280                   // 00000000623C: D8EC4380 6A000034
	ds_read_b64 v[108:109], v52 offset:17408                   // 000000006244: D8EC4400 6C000034
	ds_read_b64 v[110:111], v52 offset:17536                   // 00000000624C: D8EC4480 6E000034
	ds_read_b64 v[112:113], v52 offset:17664                   // 000000006254: D8EC4500 70000034
	ds_read_b64 v[114:115], v52 offset:17792                   // 00000000625C: D8EC4580 72000034
	ds_read_b64 v[116:117], v52 offset:17920                   // 000000006264: D8EC4600 74000034
	ds_read_b64 v[118:119], v52 offset:18048                   // 00000000626C: D8EC4680 76000034
	ds_read_b64 v[120:121], v52 offset:18176                   // 000000006274: D8EC4700 78000034
	ds_read_b64 v[122:123], v52 offset:18304                   // 00000000627C: D8EC4780 7A000034
	ds_read_b64 v[124:125], v52 offset:18432                   // 000000006284: D8EC4800 7C000034
	ds_read_b64 v[126:127], v52 offset:18560                   // 00000000628C: D8EC4880 7E000034
	s_waitcnt lgkmcnt(0)                                       // 000000006294: BF8CC07F
	v_max3_f32 v22, |v96|, |v98|, v22                          // 000000006298: D1D30316 045AC560
	v_max3_f32 v23, |v97|, |v99|, v23                          // 0000000062A0: D1D30317 045EC761
	v_max3_f32 v22, |v100|, |v102|, v22                        // 0000000062A8: D1D30316 045ACD64
	v_max3_f32 v23, |v101|, |v103|, v23                        // 0000000062B0: D1D30317 045ECF65
	v_max3_f32 v22, |v104|, |v106|, v22                        // 0000000062B8: D1D30316 045AD568
	v_max3_f32 v23, |v105|, |v107|, v23                        // 0000000062C0: D1D30317 045ED769
	v_max3_f32 v22, |v108|, |v110|, v22                        // 0000000062C8: D1D30316 045ADD6C
	v_max3_f32 v23, |v109|, |v111|, v23                        // 0000000062D0: D1D30317 045EDF6D
	v_max3_f32 v22, |v112|, |v114|, v22                        // 0000000062D8: D1D30316 045AE570
	v_max3_f32 v23, |v113|, |v115|, v23                        // 0000000062E0: D1D30317 045EE771
	v_max3_f32 v22, |v116|, |v118|, v22                        // 0000000062E8: D1D30316 045AED74
	v_max3_f32 v23, |v117|, |v119|, v23                        // 0000000062F0: D1D30317 045EEF75
	v_max3_f32 v22, |v120|, |v122|, v22                        // 0000000062F8: D1D30316 045AF578
	v_max3_f32 v23, |v121|, |v123|, v23                        // 000000006300: D1D30317 045EF779
	v_max3_f32 v22, |v124|, |v126|, v22                        // 000000006308: D1D30316 045AFD7C
	v_max3_f32 v23, |v125|, |v127|, v23                        // 000000006310: D1D30317 045EFF7D
	v_rcp_f32_e32 v22, v22                                     // 000000006318: 7E2C4516
	v_rcp_f32_e32 v23, v23                                     // 00000000631C: 7E2E4517
	v_mov_b32_e32 v52, 0x43700000                              // 000000006320: 7E6802FF 43700000
	v_mul_f32_e32 v22, v52, v22                                // 000000006328: 0A2C2D34
	v_mul_f32_e32 v23, v52, v23                                // 00000000632C: 0A2E2F34
	v_mul_f32_e32 v128, v22, v128                              // 000000006330: 0B010116
	v_mul_f32_e32 v129, v22, v129                              // 000000006334: 0B030316
	v_mul_f32_e32 v130, v22, v130                              // 000000006338: 0B050516
	v_mul_f32_e32 v131, v22, v131                              // 00000000633C: 0B070716
	v_cvt_pk_fp8_f32 v128, v128, v129                          // 000000006340: D2A20080 00030380
	v_cvt_pk_fp8_f32 v128, v130, v131 op_sel:[0,0,1]           // 000000006348: D2A24080 00030782
	v_mul_f32_e32 v132, v23, v132                              // 000000006350: 0B090917
	v_mul_f32_e32 v133, v23, v133                              // 000000006354: 0B0B0B17
	v_mul_f32_e32 v134, v23, v134                              // 000000006358: 0B0D0D17
	v_mul_f32_e32 v135, v23, v135                              // 00000000635C: 0B0F0F17
	v_cvt_pk_fp8_f32 v129, v132, v133                          // 000000006360: D2A20081 00030B84
	v_cvt_pk_fp8_f32 v129, v134, v135 op_sel:[0,0,1]           // 000000006368: D2A24081 00030F86
	v_mul_f32_e32 v136, v22, v136                              // 000000006370: 0B111116
	v_mul_f32_e32 v137, v22, v137                              // 000000006374: 0B131316
	v_mul_f32_e32 v138, v22, v138                              // 000000006378: 0B151516
	v_mul_f32_e32 v139, v22, v139                              // 00000000637C: 0B171716
	v_cvt_pk_fp8_f32 v130, v136, v137                          // 000000006380: D2A20082 00031388
	v_cvt_pk_fp8_f32 v130, v138, v139 op_sel:[0,0,1]           // 000000006388: D2A24082 0003178A
	v_mul_f32_e32 v140, v23, v140                              // 000000006390: 0B191917
	v_mul_f32_e32 v141, v23, v141                              // 000000006394: 0B1B1B17
	v_mul_f32_e32 v142, v23, v142                              // 000000006398: 0B1D1D17
	v_mul_f32_e32 v143, v23, v143                              // 00000000639C: 0B1F1F17
	v_cvt_pk_fp8_f32 v131, v140, v141                          // 0000000063A0: D2A20083 00031B8C
	v_cvt_pk_fp8_f32 v131, v142, v143 op_sel:[0,0,1]           // 0000000063A8: D2A24083 00031F8E
	v_mul_f32_e32 v144, v22, v144                              // 0000000063B0: 0B212116
	v_mul_f32_e32 v145, v22, v145                              // 0000000063B4: 0B232316
	v_mul_f32_e32 v146, v22, v146                              // 0000000063B8: 0B252516
	v_mul_f32_e32 v147, v22, v147                              // 0000000063BC: 0B272716
	v_cvt_pk_fp8_f32 v132, v144, v145                          // 0000000063C0: D2A20084 00032390
	v_cvt_pk_fp8_f32 v132, v146, v147 op_sel:[0,0,1]           // 0000000063C8: D2A24084 00032792
	v_mul_f32_e32 v148, v23, v148                              // 0000000063D0: 0B292917
	v_mul_f32_e32 v149, v23, v149                              // 0000000063D4: 0B2B2B17
	v_mul_f32_e32 v150, v23, v150                              // 0000000063D8: 0B2D2D17
	v_mul_f32_e32 v151, v23, v151                              // 0000000063DC: 0B2F2F17
	v_cvt_pk_fp8_f32 v133, v148, v149                          // 0000000063E0: D2A20085 00032B94
	v_cvt_pk_fp8_f32 v133, v150, v151 op_sel:[0,0,1]           // 0000000063E8: D2A24085 00032F96
	v_mul_f32_e32 v152, v22, v152                              // 0000000063F0: 0B313116
	v_mul_f32_e32 v153, v22, v153                              // 0000000063F4: 0B333316
	v_mul_f32_e32 v154, v22, v154                              // 0000000063F8: 0B353516
	v_mul_f32_e32 v155, v22, v155                              // 0000000063FC: 0B373716
	v_cvt_pk_fp8_f32 v134, v152, v153                          // 000000006400: D2A20086 00033398
	v_cvt_pk_fp8_f32 v134, v154, v155 op_sel:[0,0,1]           // 000000006408: D2A24086 0003379A
	v_mul_f32_e32 v156, v23, v156                              // 000000006410: 0B393917
	v_mul_f32_e32 v157, v23, v157                              // 000000006414: 0B3B3B17
	v_mul_f32_e32 v158, v23, v158                              // 000000006418: 0B3D3D17
	v_mul_f32_e32 v159, v23, v159                              // 00000000641C: 0B3F3F17
	v_cvt_pk_fp8_f32 v135, v156, v157                          // 000000006420: D2A20087 00033B9C
	v_cvt_pk_fp8_f32 v135, v158, v159 op_sel:[0,0,1]           // 000000006428: D2A24087 00033F9E
	v_mul_f32_e32 v160, v22, v160                              // 000000006430: 0B414116
	v_mul_f32_e32 v161, v22, v161                              // 000000006434: 0B434316
	v_mul_f32_e32 v162, v22, v162                              // 000000006438: 0B454516
	v_mul_f32_e32 v163, v22, v163                              // 00000000643C: 0B474716
	v_cvt_pk_fp8_f32 v136, v160, v161                          // 000000006440: D2A20088 000343A0
	v_cvt_pk_fp8_f32 v136, v162, v163 op_sel:[0,0,1]           // 000000006448: D2A24088 000347A2
	v_mul_f32_e32 v164, v23, v164                              // 000000006450: 0B494917
	v_mul_f32_e32 v165, v23, v165                              // 000000006454: 0B4B4B17
	v_mul_f32_e32 v166, v23, v166                              // 000000006458: 0B4D4D17
	v_mul_f32_e32 v167, v23, v167                              // 00000000645C: 0B4F4F17
	v_cvt_pk_fp8_f32 v137, v164, v165                          // 000000006460: D2A20089 00034BA4
	v_cvt_pk_fp8_f32 v137, v166, v167 op_sel:[0,0,1]           // 000000006468: D2A24089 00034FA6
	v_mul_f32_e32 v168, v22, v168                              // 000000006470: 0B515116
	v_mul_f32_e32 v169, v22, v169                              // 000000006474: 0B535316
	v_mul_f32_e32 v170, v22, v170                              // 000000006478: 0B555516
	v_mul_f32_e32 v171, v22, v171                              // 00000000647C: 0B575716
	v_cvt_pk_fp8_f32 v138, v168, v169                          // 000000006480: D2A2008A 000353A8
	v_cvt_pk_fp8_f32 v138, v170, v171 op_sel:[0,0,1]           // 000000006488: D2A2408A 000357AA
	v_mul_f32_e32 v172, v23, v172                              // 000000006490: 0B595917
	v_mul_f32_e32 v173, v23, v173                              // 000000006494: 0B5B5B17
	v_mul_f32_e32 v174, v23, v174                              // 000000006498: 0B5D5D17
	v_mul_f32_e32 v175, v23, v175                              // 00000000649C: 0B5F5F17
	v_cvt_pk_fp8_f32 v139, v172, v173                          // 0000000064A0: D2A2008B 00035BAC
	v_cvt_pk_fp8_f32 v139, v174, v175 op_sel:[0,0,1]           // 0000000064A8: D2A2408B 00035FAE
	v_mul_f32_e32 v176, v22, v176                              // 0000000064B0: 0B616116
	v_mul_f32_e32 v177, v22, v177                              // 0000000064B4: 0B636316
	v_mul_f32_e32 v178, v22, v178                              // 0000000064B8: 0B656516
	v_mul_f32_e32 v179, v22, v179                              // 0000000064BC: 0B676716
	v_cvt_pk_fp8_f32 v140, v176, v177                          // 0000000064C0: D2A2008C 000363B0
	v_cvt_pk_fp8_f32 v140, v178, v179 op_sel:[0,0,1]           // 0000000064C8: D2A2408C 000367B2
	v_mul_f32_e32 v180, v23, v180                              // 0000000064D0: 0B696917
	v_mul_f32_e32 v181, v23, v181                              // 0000000064D4: 0B6B6B17
	v_mul_f32_e32 v182, v23, v182                              // 0000000064D8: 0B6D6D17
	v_mul_f32_e32 v183, v23, v183                              // 0000000064DC: 0B6F6F17
	v_cvt_pk_fp8_f32 v141, v180, v181                          // 0000000064E0: D2A2008D 00036BB4
	v_cvt_pk_fp8_f32 v141, v182, v183 op_sel:[0,0,1]           // 0000000064E8: D2A2408D 00036FB6
	v_rcp_f32_e32 v24, v22                                     // 0000000064F0: 7E304516
	v_rcp_f32_e32 v25, v23                                     // 0000000064F4: 7E324517
	v_lshrrev_b32_e32 v52, 5, v0                               // 0000000064F8: 20680085
	v_lshlrev_b32_e32 v53, 5, v52                              // 0000000064FC: 246A6885
	v_and_b32_e32 v52, 31, v0                                  // 000000006500: 2668009F
	v_lshrrev_b32_e32 v54, 4, v52                              // 000000006504: 206C6884
	v_add_u32_e32 v53, v54, v53                                // 000000006508: 686A6B36
	v_and_b32_e32 v52, 15, v0                                  // 00000000650C: 2668008F
	v_lshlrev_b32_e32 v52, 1, v52                              // 000000006510: 24686881
	v_add_u32_e32 v53, v52, v53                                // 000000006514: 686A6B34
	v_lshlrev_b32_e32 v52, 2, v53                              // 000000006518: 24686A82
	s_mul_i32 s60, 0x100, s7                                   // 00000000651C: 923C07FF 00000100
	v_add_u32_e64 v52, v52, s60                                // 000000006524: D1340034 00007934
	ds_write_b32 v52, v128 offset:18688                        // 00000000652C: D81A4900 00008034
	ds_write_b32 v52, v129 offset:25856                        // 000000006534: D81A6500 00008134
	ds_write_b32 v52, v130 offset:19712                        // 00000000653C: D81A4D00 00008234
	ds_write_b32 v52, v131 offset:26880                        // 000000006544: D81A6900 00008334
	ds_write_b32 v52, v132 offset:20736                        // 00000000654C: D81A5100 00008434
	ds_write_b32 v52, v133 offset:27904                        // 000000006554: D81A6D00 00008534
	ds_write_b32 v52, v134 offset:21760                        // 00000000655C: D81A5500 00008634
	ds_write_b32 v52, v135 offset:28928                        // 000000006564: D81A7100 00008734
	ds_write_b32 v52, v136 offset:22784                        // 00000000656C: D81A5900 00008834
	ds_write_b32 v52, v137 offset:29952                        // 000000006574: D81A7500 00008934
	ds_write_b32 v52, v138 offset:23808                        // 00000000657C: D81A5D00 00008A34
	ds_write_b32 v52, v139 offset:30976                        // 000000006584: D81A7900 00008B34
	ds_write_b32 v52, v140 offset:24832                        // 00000000658C: D81A6100 00008C34
	ds_write_b32 v52, v141 offset:32000                        // 000000006594: D81A7D00 00008D34
	s_waitcnt lgkmcnt(0)                                       // 00000000659C: BF8CC07F
	s_barrier                                                  // 0000000065A0: BF8A0000
	v_lshrrev_b32_e32 v52, 4, v0                               // 0000000065A4: 20680084
	v_lshlrev_b32_e32 v53, 6, v52                              // 0000000065A8: 246A6886
	v_and_b32_e32 v52, 15, v0                                  // 0000000065AC: 2668008F
	v_lshlrev_b32_e32 v52, 1, v52                              // 0000000065B0: 24686881
	v_add_u32_e32 v53, v52, v53                                // 0000000065B4: 686A6B34
	v_lshlrev_b32_e32 v52, 2, v53                              // 0000000065B8: 24686A82
	ds_read_b64 v[128:129], v52 offset:18688                   // 0000000065BC: D8EC4900 80000034
	ds_read_b64 v[130:131], v52 offset:18816                   // 0000000065C4: D8EC4980 82000034
	ds_read_b64 v[132:133], v52 offset:19712                   // 0000000065CC: D8EC4D00 84000034
	ds_read_b64 v[134:135], v52 offset:19840                   // 0000000065D4: D8EC4D80 86000034
	ds_read_b64 v[136:137], v52 offset:20736                   // 0000000065DC: D8EC5100 88000034
	ds_read_b64 v[138:139], v52 offset:20864                   // 0000000065E4: D8EC5180 8A000034
	ds_read_b64 v[140:141], v52 offset:21760                   // 0000000065EC: D8EC5500 8C000034
	ds_read_b64 v[142:143], v52 offset:21888                   // 0000000065F4: D8EC5580 8E000034
	ds_read_b64 v[144:145], v52 offset:22784                   // 0000000065FC: D8EC5900 90000034
	ds_read_b64 v[146:147], v52 offset:22912                   // 000000006604: D8EC5980 92000034
	ds_read_b64 v[148:149], v52 offset:23808                   // 00000000660C: D8EC5D00 94000034
	ds_read_b64 v[150:151], v52 offset:23936                   // 000000006614: D8EC5D80 96000034
	ds_read_b64 v[152:153], v52 offset:24832                   // 00000000661C: D8EC6100 98000034
	ds_read_b64 v[154:155], v52 offset:24960                   // 000000006624: D8EC6180 9A000034
	ds_read_b64 v[156:157], v52 offset:25856                   // 00000000662C: D8EC6500 9C000034
	ds_read_b64 v[158:159], v52 offset:25984                   // 000000006634: D8EC6580 9E000034
	ds_read_b64 v[160:161], v52 offset:26880                   // 00000000663C: D8EC6900 A0000034
	ds_read_b64 v[162:163], v52 offset:27008                   // 000000006644: D8EC6980 A2000034
	ds_read_b64 v[164:165], v52 offset:27904                   // 00000000664C: D8EC6D00 A4000034
	ds_read_b64 v[166:167], v52 offset:28032                   // 000000006654: D8EC6D80 A6000034
	ds_read_b64 v[168:169], v52 offset:28928                   // 00000000665C: D8EC7100 A8000034
	ds_read_b64 v[170:171], v52 offset:29056                   // 000000006664: D8EC7180 AA000034
	ds_read_b64 v[172:173], v52 offset:29952                   // 00000000666C: D8EC7500 AC000034
	ds_read_b64 v[174:175], v52 offset:30080                   // 000000006674: D8EC7580 AE000034
	ds_read_b64 v[176:177], v52 offset:30976                   // 00000000667C: D8EC7900 B0000034
	ds_read_b64 v[178:179], v52 offset:31104                   // 000000006684: D8EC7980 B2000034
	ds_read_b64 v[180:181], v52 offset:32000                   // 00000000668C: D8EC7D00 B4000034
	ds_read_b64 v[182:183], v52 offset:32128                   // 000000006694: D8EC7D80 B6000034
	s_add_u32 s12, s56, s12                                    // 00000000669C: 800C0C38
	s_addc_u32 s13, 0, s13                                     // 0000000066A0: 820D0D80
	s_add_u32 s16, s79, s16                                    // 0000000066A4: 8010104F
	s_addc_u32 s17, 0, s17                                     // 0000000066A8: 82111180
	s_mov_b32 s80, 0                                           // 0000000066AC: BED00080
	s_waitcnt vmcnt(0) expcnt(0) lgkmcnt(0)                    // 0000000066B0: BF8C0000

00000000000066b4 <label_0E2D>:
	s_waitcnt vmcnt(41)                                        // 0000000066B4: BF8C8F79
	s_barrier                                                  // 0000000066B8: BF8A0000
	v_mfma_f32_16x16x32_fp8_fp8 v[184:187], a[0:1], v[128:129], 0// 0000000066BC: D3F300B8 0A030100
	v_mfma_f32_16x16x32_fp8_fp8 v[184:187], a[2:3], v[130:131], v[184:187]// 0000000066C4: D3F300B8 0EE30502
	buffer_load_dwordx4 a[112:115], v41, s[12:15], 0 offen     // 0000000066CC: E05C1000 80837029
	v_mfma_f32_16x16x32_fp8_fp8 v[188:191], a[0:1], v[156:157], 0// 0000000066D4: D3F300BC 0A033900
	v_mfma_f32_16x16x32_fp8_fp8 v[188:191], a[2:3], v[158:159], v[188:191]// 0000000066DC: D3F300BC 0EF33D02
	v_mfma_f32_16x16x32_fp8_fp8 v[192:195], a[4:5], v[128:129], 0// 0000000066E4: D3F300C0 0A030104
	v_mfma_f32_16x16x32_fp8_fp8 v[192:195], a[6:7], v[130:131], v[192:195]// 0000000066EC: D3F300C0 0F030506
	buffer_load_dwordx4 a[116:119], v42, s[12:15], 0 offen     // 0000000066F4: E05C1000 8083742A
	v_mfma_f32_16x16x32_fp8_fp8 v[196:199], a[4:5], v[156:157], 0// 0000000066FC: D3F300C4 0A033904
	v_mfma_f32_16x16x32_fp8_fp8 v[196:199], a[6:7], v[158:159], v[196:199]// 000000006704: D3F300C4 0F133D06
	v_mfma_f32_16x16x32_fp8_fp8 v[200:203], a[8:9], v[128:129], 0// 00000000670C: D3F300C8 0A030108
	v_mfma_f32_16x16x32_fp8_fp8 v[200:203], a[10:11], v[130:131], v[200:203]// 000000006714: D3F300C8 0F23050A
	buffer_load_dwordx4 a[120:123], v43, s[12:15], 0 offen     // 00000000671C: E05C1000 8083782B
	v_mfma_f32_16x16x32_fp8_fp8 v[204:207], a[8:9], v[156:157], 0// 000000006724: D3F300CC 0A033908
	v_mfma_f32_16x16x32_fp8_fp8 v[204:207], a[10:11], v[158:159], v[204:207]// 00000000672C: D3F300CC 0F333D0A
	v_mfma_f32_16x16x32_fp8_fp8 v[208:211], a[12:13], v[128:129], 0// 000000006734: D3F300D0 0A03010C
	v_mfma_f32_16x16x32_fp8_fp8 v[208:211], a[14:15], v[130:131], v[208:211]// 00000000673C: D3F300D0 0F43050E
	buffer_load_dwordx4 a[124:127], v44, s[12:15], 0 offen     // 000000006744: E05C1000 80837C2C
	s_add_u32 s12, s78, s12                                    // 00000000674C: 800C0C4E
	s_addc_u32 s13, 0, s13                                     // 000000006750: 820D0D80
	v_mfma_f32_16x16x32_fp8_fp8 v[212:215], a[12:13], v[156:157], 0// 000000006754: D3F300D4 0A03390C
	v_mfma_f32_16x16x32_fp8_fp8 v[212:215], a[14:15], v[158:159], v[212:215]// 00000000675C: D3F300D4 0F533D0E
	s_waitcnt vmcnt(41)                                        // 000000006764: BF8C8F79
	v_mfma_f32_16x16x32_fp8_fp8 v[184:187], a[16:17], v[132:133], v[184:187]// 000000006768: D3F300B8 0EE30910
	v_mfma_f32_16x16x32_fp8_fp8 v[184:187], a[18:19], v[134:135], v[184:187]// 000000006770: D3F300B8 0EE30D12
	buffer_load_dwordx4 a[128:131], v41, s[12:15], 0 offen     // 000000006778: E05C1000 80838029
	v_mfma_f32_16x16x32_fp8_fp8 v[188:191], a[16:17], v[160:161], v[188:191]// 000000006780: D3F300BC 0EF34110
	v_mfma_f32_16x16x32_fp8_fp8 v[188:191], a[18:19], v[162:163], v[188:191]// 000000006788: D3F300BC 0EF34512
	v_mfma_f32_16x16x32_fp8_fp8 v[192:195], a[20:21], v[132:133], v[192:195]// 000000006790: D3F300C0 0F030914
	v_mfma_f32_16x16x32_fp8_fp8 v[192:195], a[22:23], v[134:135], v[192:195]// 000000006798: D3F300C0 0F030D16
	buffer_load_dwordx4 a[132:135], v42, s[12:15], 0 offen     // 0000000067A0: E05C1000 8083842A
	v_mfma_f32_16x16x32_fp8_fp8 v[196:199], a[20:21], v[160:161], v[196:199]// 0000000067A8: D3F300C4 0F134114
	v_mfma_f32_16x16x32_fp8_fp8 v[196:199], a[22:23], v[162:163], v[196:199]// 0000000067B0: D3F300C4 0F134516
	v_mfma_f32_16x16x32_fp8_fp8 v[200:203], a[24:25], v[132:133], v[200:203]// 0000000067B8: D3F300C8 0F230918
	v_mfma_f32_16x16x32_fp8_fp8 v[200:203], a[26:27], v[134:135], v[200:203]// 0000000067C0: D3F300C8 0F230D1A
	buffer_load_dwordx4 a[136:139], v43, s[12:15], 0 offen     // 0000000067C8: E05C1000 8083882B
	v_mfma_f32_16x16x32_fp8_fp8 v[204:207], a[24:25], v[160:161], v[204:207]// 0000000067D0: D3F300CC 0F334118
	v_mfma_f32_16x16x32_fp8_fp8 v[204:207], a[26:27], v[162:163], v[204:207]// 0000000067D8: D3F300CC 0F33451A
	v_mfma_f32_16x16x32_fp8_fp8 v[208:211], a[28:29], v[132:133], v[208:211]// 0000000067E0: D3F300D0 0F43091C
	v_mfma_f32_16x16x32_fp8_fp8 v[208:211], a[30:31], v[134:135], v[208:211]// 0000000067E8: D3F300D0 0F430D1E
	buffer_load_dwordx4 a[140:143], v44, s[12:15], 0 offen     // 0000000067F0: E05C1000 80838C2C
	s_add_u32 s12, s78, s12                                    // 0000000067F8: 800C0C4E
	s_addc_u32 s13, 0, s13                                     // 0000000067FC: 820D0D80
	v_mfma_f32_16x16x32_fp8_fp8 v[212:215], a[28:29], v[160:161], v[212:215]// 000000006800: D3F300D4 0F53411C
	v_mfma_f32_16x16x32_fp8_fp8 v[212:215], a[30:31], v[162:163], v[212:215]// 000000006808: D3F300D4 0F53451E
	s_waitcnt vmcnt(41)                                        // 000000006810: BF8C8F79
	v_mfma_f32_16x16x32_fp8_fp8 v[184:187], a[32:33], v[136:137], v[184:187]// 000000006814: D3F300B8 0EE31120
	v_mfma_f32_16x16x32_fp8_fp8 v[184:187], a[34:35], v[138:139], v[184:187]// 00000000681C: D3F300B8 0EE31522
	buffer_load_dwordx4 a[144:147], v41, s[12:15], 0 offen     // 000000006824: E05C1000 80839029
	v_mfma_f32_16x16x32_fp8_fp8 v[188:191], a[32:33], v[164:165], v[188:191]// 00000000682C: D3F300BC 0EF34920
	v_mfma_f32_16x16x32_fp8_fp8 v[188:191], a[34:35], v[166:167], v[188:191]// 000000006834: D3F300BC 0EF34D22
	v_mfma_f32_16x16x32_fp8_fp8 v[192:195], a[36:37], v[136:137], v[192:195]// 00000000683C: D3F300C0 0F031124
	v_mfma_f32_16x16x32_fp8_fp8 v[192:195], a[38:39], v[138:139], v[192:195]// 000000006844: D3F300C0 0F031526
	buffer_load_dwordx4 a[148:151], v42, s[12:15], 0 offen     // 00000000684C: E05C1000 8083942A
	v_mfma_f32_16x16x32_fp8_fp8 v[196:199], a[36:37], v[164:165], v[196:199]// 000000006854: D3F300C4 0F134924
	v_mfma_f32_16x16x32_fp8_fp8 v[196:199], a[38:39], v[166:167], v[196:199]// 00000000685C: D3F300C4 0F134D26
	v_mfma_f32_16x16x32_fp8_fp8 v[200:203], a[40:41], v[136:137], v[200:203]// 000000006864: D3F300C8 0F231128
	v_mfma_f32_16x16x32_fp8_fp8 v[200:203], a[42:43], v[138:139], v[200:203]// 00000000686C: D3F300C8 0F23152A
	buffer_load_dwordx4 a[152:155], v43, s[12:15], 0 offen     // 000000006874: E05C1000 8083982B
	v_mfma_f32_16x16x32_fp8_fp8 v[204:207], a[40:41], v[164:165], v[204:207]// 00000000687C: D3F300CC 0F334928
	v_mfma_f32_16x16x32_fp8_fp8 v[204:207], a[42:43], v[166:167], v[204:207]// 000000006884: D3F300CC 0F334D2A
	v_mfma_f32_16x16x32_fp8_fp8 v[208:211], a[44:45], v[136:137], v[208:211]// 00000000688C: D3F300D0 0F43112C
	v_mfma_f32_16x16x32_fp8_fp8 v[208:211], a[46:47], v[138:139], v[208:211]// 000000006894: D3F300D0 0F43152E
	buffer_load_dwordx4 a[156:159], v44, s[12:15], 0 offen     // 00000000689C: E05C1000 80839C2C
	s_add_u32 s12, s78, s12                                    // 0000000068A4: 800C0C4E
	s_addc_u32 s13, 0, s13                                     // 0000000068A8: 820D0D80
	v_mfma_f32_16x16x32_fp8_fp8 v[212:215], a[44:45], v[164:165], v[212:215]// 0000000068AC: D3F300D4 0F53492C
	v_mfma_f32_16x16x32_fp8_fp8 v[212:215], a[46:47], v[166:167], v[212:215]// 0000000068B4: D3F300D4 0F534D2E
	s_waitcnt vmcnt(41)                                        // 0000000068BC: BF8C8F79
	v_mfma_f32_16x16x32_fp8_fp8 v[184:187], a[48:49], v[140:141], v[184:187]// 0000000068C0: D3F300B8 0EE31930
	v_mfma_f32_16x16x32_fp8_fp8 v[184:187], a[50:51], v[142:143], v[184:187]// 0000000068C8: D3F300B8 0EE31D32
	buffer_load_dwordx4 a[160:163], v41, s[12:15], 0 offen     // 0000000068D0: E05C1000 8083A029
	v_mfma_f32_16x16x32_fp8_fp8 v[188:191], a[48:49], v[168:169], v[188:191]// 0000000068D8: D3F300BC 0EF35130
	v_mfma_f32_16x16x32_fp8_fp8 v[188:191], a[50:51], v[170:171], v[188:191]// 0000000068E0: D3F300BC 0EF35532
	v_mfma_f32_16x16x32_fp8_fp8 v[192:195], a[52:53], v[140:141], v[192:195]// 0000000068E8: D3F300C0 0F031934
	v_mfma_f32_16x16x32_fp8_fp8 v[192:195], a[54:55], v[142:143], v[192:195]// 0000000068F0: D3F300C0 0F031D36
	buffer_load_dwordx4 a[164:167], v42, s[12:15], 0 offen     // 0000000068F8: E05C1000 8083A42A
	v_mfma_f32_16x16x32_fp8_fp8 v[196:199], a[52:53], v[168:169], v[196:199]// 000000006900: D3F300C4 0F135134
	v_mfma_f32_16x16x32_fp8_fp8 v[196:199], a[54:55], v[170:171], v[196:199]// 000000006908: D3F300C4 0F135536
	v_mfma_f32_16x16x32_fp8_fp8 v[200:203], a[56:57], v[140:141], v[200:203]// 000000006910: D3F300C8 0F231938
	v_mfma_f32_16x16x32_fp8_fp8 v[200:203], a[58:59], v[142:143], v[200:203]// 000000006918: D3F300C8 0F231D3A
	buffer_load_dwordx4 a[168:171], v43, s[12:15], 0 offen     // 000000006920: E05C1000 8083A82B
	v_mfma_f32_16x16x32_fp8_fp8 v[204:207], a[56:57], v[168:169], v[204:207]// 000000006928: D3F300CC 0F335138
	v_mfma_f32_16x16x32_fp8_fp8 v[204:207], a[58:59], v[170:171], v[204:207]// 000000006930: D3F300CC 0F33553A
	v_mfma_f32_16x16x32_fp8_fp8 v[208:211], a[60:61], v[140:141], v[208:211]// 000000006938: D3F300D0 0F43193C
	v_mfma_f32_16x16x32_fp8_fp8 v[208:211], a[62:63], v[142:143], v[208:211]// 000000006940: D3F300D0 0F431D3E
	buffer_load_dwordx4 a[172:175], v44, s[12:15], 0 offen     // 000000006948: E05C1000 8083AC2C
	s_add_u32 s12, s78, s12                                    // 000000006950: 800C0C4E
	s_addc_u32 s13, 0, s13                                     // 000000006954: 820D0D80
	v_mfma_f32_16x16x32_fp8_fp8 v[212:215], a[60:61], v[168:169], v[212:215]// 000000006958: D3F300D4 0F53513C
	v_mfma_f32_16x16x32_fp8_fp8 v[212:215], a[62:63], v[170:171], v[212:215]// 000000006960: D3F300D4 0F53553E
	s_waitcnt vmcnt(41)                                        // 000000006968: BF8C8F79
	v_mfma_f32_16x16x32_fp8_fp8 v[184:187], a[64:65], v[144:145], v[184:187]// 00000000696C: D3F300B8 0EE32140
	v_mfma_f32_16x16x32_fp8_fp8 v[184:187], a[66:67], v[146:147], v[184:187]// 000000006974: D3F300B8 0EE32542
	buffer_load_dwordx4 a[176:179], v41, s[12:15], 0 offen     // 00000000697C: E05C1000 8083B029
	v_mfma_f32_16x16x32_fp8_fp8 v[188:191], a[64:65], v[172:173], v[188:191]// 000000006984: D3F300BC 0EF35940
	v_mfma_f32_16x16x32_fp8_fp8 v[188:191], a[66:67], v[174:175], v[188:191]// 00000000698C: D3F300BC 0EF35D42
	v_mfma_f32_16x16x32_fp8_fp8 v[192:195], a[68:69], v[144:145], v[192:195]// 000000006994: D3F300C0 0F032144
	v_mfma_f32_16x16x32_fp8_fp8 v[192:195], a[70:71], v[146:147], v[192:195]// 00000000699C: D3F300C0 0F032546
	buffer_load_dwordx4 a[180:183], v42, s[12:15], 0 offen     // 0000000069A4: E05C1000 8083B42A
	v_mfma_f32_16x16x32_fp8_fp8 v[196:199], a[68:69], v[172:173], v[196:199]// 0000000069AC: D3F300C4 0F135944
	v_mfma_f32_16x16x32_fp8_fp8 v[196:199], a[70:71], v[174:175], v[196:199]// 0000000069B4: D3F300C4 0F135D46
	v_mfma_f32_16x16x32_fp8_fp8 v[200:203], a[72:73], v[144:145], v[200:203]// 0000000069BC: D3F300C8 0F232148
	v_mfma_f32_16x16x32_fp8_fp8 v[200:203], a[74:75], v[146:147], v[200:203]// 0000000069C4: D3F300C8 0F23254A
	buffer_load_dwordx4 a[184:187], v43, s[12:15], 0 offen     // 0000000069CC: E05C1000 8083B82B
	v_mfma_f32_16x16x32_fp8_fp8 v[204:207], a[72:73], v[172:173], v[204:207]// 0000000069D4: D3F300CC 0F335948
	v_mfma_f32_16x16x32_fp8_fp8 v[204:207], a[74:75], v[174:175], v[204:207]// 0000000069DC: D3F300CC 0F335D4A
	v_mfma_f32_16x16x32_fp8_fp8 v[208:211], a[76:77], v[144:145], v[208:211]// 0000000069E4: D3F300D0 0F43214C
	v_mfma_f32_16x16x32_fp8_fp8 v[208:211], a[78:79], v[146:147], v[208:211]// 0000000069EC: D3F300D0 0F43254E
	buffer_load_dwordx4 a[188:191], v44, s[12:15], 0 offen     // 0000000069F4: E05C1000 8083BC2C
	s_add_u32 s12, s78, s12                                    // 0000000069FC: 800C0C4E
	s_addc_u32 s13, 0, s13                                     // 000000006A00: 820D0D80
	v_mfma_f32_16x16x32_fp8_fp8 v[212:215], a[76:77], v[172:173], v[212:215]// 000000006A04: D3F300D4 0F53594C
	v_mfma_f32_16x16x32_fp8_fp8 v[212:215], a[78:79], v[174:175], v[212:215]// 000000006A0C: D3F300D4 0F535D4E
	s_waitcnt vmcnt(41)                                        // 000000006A14: BF8C8F79
	v_mfma_f32_16x16x32_fp8_fp8 v[184:187], a[80:81], v[148:149], v[184:187]// 000000006A18: D3F300B8 0EE32950
	v_mfma_f32_16x16x32_fp8_fp8 v[184:187], a[82:83], v[150:151], v[184:187]// 000000006A20: D3F300B8 0EE32D52
	buffer_load_dwordx4 a[192:195], v41, s[12:15], 0 offen     // 000000006A28: E05C1000 8083C029
	v_mfma_f32_16x16x32_fp8_fp8 v[188:191], a[80:81], v[176:177], v[188:191]// 000000006A30: D3F300BC 0EF36150
	v_mfma_f32_16x16x32_fp8_fp8 v[188:191], a[82:83], v[178:179], v[188:191]// 000000006A38: D3F300BC 0EF36552
	v_mfma_f32_16x16x32_fp8_fp8 v[192:195], a[84:85], v[148:149], v[192:195]// 000000006A40: D3F300C0 0F032954
	v_mfma_f32_16x16x32_fp8_fp8 v[192:195], a[86:87], v[150:151], v[192:195]// 000000006A48: D3F300C0 0F032D56
	buffer_load_dwordx4 a[196:199], v42, s[12:15], 0 offen     // 000000006A50: E05C1000 8083C42A
	v_mfma_f32_16x16x32_fp8_fp8 v[196:199], a[84:85], v[176:177], v[196:199]// 000000006A58: D3F300C4 0F136154
	v_mfma_f32_16x16x32_fp8_fp8 v[196:199], a[86:87], v[178:179], v[196:199]// 000000006A60: D3F300C4 0F136556
	v_mfma_f32_16x16x32_fp8_fp8 v[200:203], a[88:89], v[148:149], v[200:203]// 000000006A68: D3F300C8 0F232958
	v_mfma_f32_16x16x32_fp8_fp8 v[200:203], a[90:91], v[150:151], v[200:203]// 000000006A70: D3F300C8 0F232D5A
	buffer_load_dwordx4 a[200:203], v43, s[12:15], 0 offen     // 000000006A78: E05C1000 8083C82B
	v_mfma_f32_16x16x32_fp8_fp8 v[204:207], a[88:89], v[176:177], v[204:207]// 000000006A80: D3F300CC 0F336158
	v_mfma_f32_16x16x32_fp8_fp8 v[204:207], a[90:91], v[178:179], v[204:207]// 000000006A88: D3F300CC 0F33655A
	v_mfma_f32_16x16x32_fp8_fp8 v[208:211], a[92:93], v[148:149], v[208:211]// 000000006A90: D3F300D0 0F43295C
	v_mfma_f32_16x16x32_fp8_fp8 v[208:211], a[94:95], v[150:151], v[208:211]// 000000006A98: D3F300D0 0F432D5E
	buffer_load_dwordx4 a[204:207], v44, s[12:15], 0 offen     // 000000006AA0: E05C1000 8083CC2C
	s_add_u32 s12, s78, s12                                    // 000000006AA8: 800C0C4E
	s_addc_u32 s13, 0, s13                                     // 000000006AAC: 820D0D80
	v_mfma_f32_16x16x32_fp8_fp8 v[212:215], a[92:93], v[176:177], v[212:215]// 000000006AB0: D3F300D4 0F53615C
	v_mfma_f32_16x16x32_fp8_fp8 v[212:215], a[94:95], v[178:179], v[212:215]// 000000006AB8: D3F300D4 0F53655E
	s_waitcnt vmcnt(40)                                        // 000000006AC0: BF8C8F78
	v_mfma_f32_16x16x32_fp8_fp8 v[184:187], a[96:97], v[152:153], v[184:187]// 000000006AC4: D3F300B8 0EE33160
	v_mfma_f32_16x16x32_fp8_fp8 v[184:187], a[98:99], v[154:155], v[184:187]// 000000006ACC: D3F300B8 0EE33562
	buffer_load_dwordx4 a[208:211], v41, s[12:15], 0 offen     // 000000006AD4: E05C1000 8083D029
	v_mfma_f32_16x16x32_fp8_fp8 v[188:191], a[96:97], v[180:181], v[188:191]// 000000006ADC: D3F300BC 0EF36960
	v_mfma_f32_16x16x32_fp8_fp8 v[188:191], a[98:99], v[182:183], v[188:191]// 000000006AE4: D3F300BC 0EF36D62
	buffer_load_dword v13, v5, s[16:19], 0 offen               // 000000006AEC: E0501000 80040D05
	v_mfma_f32_16x16x32_fp8_fp8 v[192:195], a[100:101], v[152:153], v[192:195]// 000000006AF4: D3F300C0 0F033164
	v_mfma_f32_16x16x32_fp8_fp8 v[192:195], a[102:103], v[154:155], v[192:195]// 000000006AFC: D3F300C0 0F033566
	buffer_load_dwordx4 a[212:215], v42, s[12:15], 0 offen     // 000000006B04: E05C1000 8083D42A
	v_mfma_f32_16x16x32_fp8_fp8 v[196:199], a[100:101], v[180:181], v[196:199]// 000000006B0C: D3F300C4 0F136964
	v_mfma_f32_16x16x32_fp8_fp8 v[196:199], a[102:103], v[182:183], v[196:199]// 000000006B14: D3F300C4 0F136D66
	v_mfma_f32_16x16x32_fp8_fp8 v[200:203], a[104:105], v[152:153], v[200:203]// 000000006B1C: D3F300C8 0F233168
	v_mfma_f32_16x16x32_fp8_fp8 v[200:203], a[106:107], v[154:155], v[200:203]// 000000006B24: D3F300C8 0F23356A
	buffer_load_dwordx4 a[216:219], v43, s[12:15], 0 offen     // 000000006B2C: E05C1000 8083D82B
	v_mfma_f32_16x16x32_fp8_fp8 v[204:207], a[104:105], v[180:181], v[204:207]// 000000006B34: D3F300CC 0F336968
	v_mfma_f32_16x16x32_fp8_fp8 v[204:207], a[106:107], v[182:183], v[204:207]// 000000006B3C: D3F300CC 0F336D6A
	v_mfma_f32_16x16x32_fp8_fp8 v[208:211], a[108:109], v[152:153], v[208:211]// 000000006B44: D3F300D0 0F43316C
	v_mfma_f32_16x16x32_fp8_fp8 v[208:211], a[110:111], v[154:155], v[208:211]// 000000006B4C: D3F300D0 0F43356E
	buffer_load_dwordx4 a[220:223], v44, s[12:15], 0 offen     // 000000006B54: E05C1000 8083DC2C
	v_mfma_f32_16x16x32_fp8_fp8 v[212:215], a[108:109], v[180:181], v[212:215]// 000000006B5C: D3F300D4 0F53696C
	v_mfma_f32_16x16x32_fp8_fp8 v[212:215], a[110:111], v[182:183], v[212:215]// 000000006B64: D3F300D4 0F536D6E
	s_add_u32 s60, 0x200, s80                                  // 000000006B6C: 803C50FF 00000200
	s_cmp_lt_u32 s60, s81                                      // 000000006B74: BF0A513C
	s_cselect_b32 s56, s56, 0                                  // 000000006B78: 85388038
	s_cselect_b32 s78, s78, 0                                  // 000000006B7C: 854E804E
	s_cselect_b32 s79, s79, 0                                  // 000000006B80: 854F804F
	s_add_u32 s12, s56, s12                                    // 000000006B84: 800C0C38
	s_addc_u32 s13, 0, s13                                     // 000000006B88: 820D0D80
	s_add_u32 s16, s79, s16                                    // 000000006B8C: 8010104F
	s_addc_u32 s17, 0, s17                                     // 000000006B90: 82111180
	v_mul_f32_e32 v184, v24, v184                              // 000000006B94: 0B717118
	v_mul_f32_e32 v185, v24, v185                              // 000000006B98: 0B737318
	v_mul_f32_e32 v186, v24, v186                              // 000000006B9C: 0B757518
	v_mul_f32_e32 v187, v24, v187                              // 000000006BA0: 0B777718
	v_mul_f32_dpp v184, v12, v184 row_newbcast:0 row_mask:0xf bank_mask:0xf// 000000006BA4: 0B7170FA FF01500C
	v_mul_f32_dpp v185, v12, v185 row_newbcast:1 row_mask:0xf bank_mask:0xf// 000000006BAC: 0B7372FA FF01510C
	v_mul_f32_dpp v186, v12, v186 row_newbcast:2 row_mask:0xf bank_mask:0xf// 000000006BB4: 0B7574FA FF01520C
	v_mul_f32_dpp v187, v12, v187 row_newbcast:3 row_mask:0xf bank_mask:0xf// 000000006BBC: 0B7776FA FF01530C
	v_mul_f32_e32 v188, v25, v188                              // 000000006BC4: 0B797919
	v_mul_f32_e32 v189, v25, v189                              // 000000006BC8: 0B7B7B19
	v_mul_f32_e32 v190, v25, v190                              // 000000006BCC: 0B7D7D19
	v_mul_f32_e32 v191, v25, v191                              // 000000006BD0: 0B7F7F19
	v_mul_f32_dpp v188, v12, v188 row_newbcast:0 row_mask:0xf bank_mask:0xf// 000000006BD4: 0B7978FA FF01500C
	v_mul_f32_dpp v189, v12, v189 row_newbcast:1 row_mask:0xf bank_mask:0xf// 000000006BDC: 0B7B7AFA FF01510C
	v_mul_f32_dpp v190, v12, v190 row_newbcast:2 row_mask:0xf bank_mask:0xf// 000000006BE4: 0B7D7CFA FF01520C
	v_mul_f32_dpp v191, v12, v191 row_newbcast:3 row_mask:0xf bank_mask:0xf// 000000006BEC: 0B7F7EFA FF01530C
	v_mul_f32_e32 v192, v24, v192                              // 000000006BF4: 0B818118
	v_mul_f32_e32 v193, v24, v193                              // 000000006BF8: 0B838318
	v_mul_f32_e32 v194, v24, v194                              // 000000006BFC: 0B858518
	v_mul_f32_e32 v195, v24, v195                              // 000000006C00: 0B878718
	v_mul_f32_dpp v192, v12, v192 row_newbcast:4 row_mask:0xf bank_mask:0xf// 000000006C04: 0B8180FA FF01540C
	v_mul_f32_dpp v193, v12, v193 row_newbcast:5 row_mask:0xf bank_mask:0xf// 000000006C0C: 0B8382FA FF01550C
	v_mul_f32_dpp v194, v12, v194 row_newbcast:6 row_mask:0xf bank_mask:0xf// 000000006C14: 0B8584FA FF01560C
	v_mul_f32_dpp v195, v12, v195 row_newbcast:7 row_mask:0xf bank_mask:0xf// 000000006C1C: 0B8786FA FF01570C
	v_mul_f32_e32 v196, v25, v196                              // 000000006C24: 0B898919
	v_mul_f32_e32 v197, v25, v197                              // 000000006C28: 0B8B8B19
	v_mul_f32_e32 v198, v25, v198                              // 000000006C2C: 0B8D8D19
	v_mul_f32_e32 v199, v25, v199                              // 000000006C30: 0B8F8F19
	v_mul_f32_dpp v196, v12, v196 row_newbcast:4 row_mask:0xf bank_mask:0xf// 000000006C34: 0B8988FA FF01540C
	v_mul_f32_dpp v197, v12, v197 row_newbcast:5 row_mask:0xf bank_mask:0xf// 000000006C3C: 0B8B8AFA FF01550C
	v_mul_f32_dpp v198, v12, v198 row_newbcast:6 row_mask:0xf bank_mask:0xf// 000000006C44: 0B8D8CFA FF01560C
	v_mul_f32_dpp v199, v12, v199 row_newbcast:7 row_mask:0xf bank_mask:0xf// 000000006C4C: 0B8F8EFA FF01570C
	v_mul_f32_e32 v200, v24, v200                              // 000000006C54: 0B919118
	v_mul_f32_e32 v201, v24, v201                              // 000000006C58: 0B939318
	v_mul_f32_e32 v202, v24, v202                              // 000000006C5C: 0B959518
	v_mul_f32_e32 v203, v24, v203                              // 000000006C60: 0B979718
	v_mul_f32_dpp v200, v12, v200 row_newbcast:8 row_mask:0xf bank_mask:0xf// 000000006C64: 0B9190FA FF01580C
	v_mul_f32_dpp v201, v12, v201 row_newbcast:9 row_mask:0xf bank_mask:0xf// 000000006C6C: 0B9392FA FF01590C
	v_mul_f32_dpp v202, v12, v202 row_newbcast:10 row_mask:0xf bank_mask:0xf// 000000006C74: 0B9594FA FF015A0C
	v_mul_f32_dpp v203, v12, v203 row_newbcast:11 row_mask:0xf bank_mask:0xf// 000000006C7C: 0B9796FA FF015B0C
	v_mul_f32_e32 v204, v25, v204                              // 000000006C84: 0B999919
	v_mul_f32_e32 v205, v25, v205                              // 000000006C88: 0B9B9B19
	v_mul_f32_e32 v206, v25, v206                              // 000000006C8C: 0B9D9D19
	v_mul_f32_e32 v207, v25, v207                              // 000000006C90: 0B9F9F19
	v_mul_f32_dpp v204, v12, v204 row_newbcast:8 row_mask:0xf bank_mask:0xf// 000000006C94: 0B9998FA FF01580C
	v_mul_f32_dpp v205, v12, v205 row_newbcast:9 row_mask:0xf bank_mask:0xf// 000000006C9C: 0B9B9AFA FF01590C
	v_mul_f32_dpp v206, v12, v206 row_newbcast:10 row_mask:0xf bank_mask:0xf// 000000006CA4: 0B9D9CFA FF015A0C
	v_mul_f32_dpp v207, v12, v207 row_newbcast:11 row_mask:0xf bank_mask:0xf// 000000006CAC: 0B9F9EFA FF015B0C
	v_mul_f32_e32 v208, v24, v208                              // 000000006CB4: 0BA1A118
	v_mul_f32_e32 v209, v24, v209                              // 000000006CB8: 0BA3A318
	v_mul_f32_e32 v210, v24, v210                              // 000000006CBC: 0BA5A518
	v_mul_f32_e32 v211, v24, v211                              // 000000006CC0: 0BA7A718
	v_mul_f32_dpp v208, v12, v208 row_newbcast:12 row_mask:0xf bank_mask:0xf// 000000006CC4: 0BA1A0FA FF015C0C
	v_mul_f32_dpp v209, v12, v209 row_newbcast:13 row_mask:0xf bank_mask:0xf// 000000006CCC: 0BA3A2FA FF015D0C
	v_mul_f32_dpp v210, v12, v210 row_newbcast:14 row_mask:0xf bank_mask:0xf// 000000006CD4: 0BA5A4FA FF015E0C
	v_mul_f32_dpp v211, v12, v211 row_newbcast:15 row_mask:0xf bank_mask:0xf// 000000006CDC: 0BA7A6FA FF015F0C
	v_mul_f32_e32 v212, v25, v212                              // 000000006CE4: 0BA9A919
	v_mul_f32_e32 v213, v25, v213                              // 000000006CE8: 0BABAB19
	v_mul_f32_e32 v214, v25, v214                              // 000000006CEC: 0BADAD19
	v_mul_f32_e32 v215, v25, v215                              // 000000006CF0: 0BAFAF19
	v_mul_f32_dpp v212, v12, v212 row_newbcast:12 row_mask:0xf bank_mask:0xf// 000000006CF4: 0BA9A8FA FF015C0C
	v_mul_f32_dpp v213, v12, v213 row_newbcast:13 row_mask:0xf bank_mask:0xf// 000000006CFC: 0BABAAFA FF015D0C
	v_mul_f32_dpp v214, v12, v214 row_newbcast:14 row_mask:0xf bank_mask:0xf// 000000006D04: 0BADACFA FF015E0C
	v_mul_f32_dpp v215, v12, v215 row_newbcast:15 row_mask:0xf bank_mask:0xf// 000000006D0C: 0BAFAEFA FF015F0C
	v_cmp_u_f32_e64 s[48:49], v184, v184                       // 000000006D14: D0480030 000371B8
	v_add3_u32 v45, v184, v48, 1                               // 000000006D1C: D1FF002D 020661B8
	v_cndmask_b32_e64 v52, v45, v47, s[48:49]                  // 000000006D24: D1000034 00C25F2D
	v_cmp_u_f32_e64 s[48:49], v185, v185                       // 000000006D2C: D0480030 000373B9
	v_add3_u32 v45, v185, v48, 1                               // 000000006D34: D1FF002D 020661B9
	v_cndmask_b32_e64 v53, v45, v47, s[48:49]                  // 000000006D3C: D1000035 00C25F2D
	v_perm_b32 v184, v53, v52, s52                             // 000000006D44: D1ED00B8 00D26935
	v_cmp_u_f32_e64 s[48:49], v186, v186                       // 000000006D4C: D0480030 000375BA
	v_add3_u32 v45, v186, v48, 1                               // 000000006D54: D1FF002D 020661BA
	v_cndmask_b32_e64 v52, v45, v47, s[48:49]                  // 000000006D5C: D1000034 00C25F2D
	v_cmp_u_f32_e64 s[48:49], v187, v187                       // 000000006D64: D0480030 000377BB
	v_add3_u32 v45, v187, v48, 1                               // 000000006D6C: D1FF002D 020661BB
	v_cndmask_b32_e64 v53, v45, v47, s[48:49]                  // 000000006D74: D1000035 00C25F2D
	v_perm_b32 v185, v53, v52, s52                             // 000000006D7C: D1ED00B9 00D26935
	v_cmp_u_f32_e64 s[48:49], v188, v188                       // 000000006D84: D0480030 000379BC
	v_add3_u32 v45, v188, v48, 1                               // 000000006D8C: D1FF002D 020661BC
	v_cndmask_b32_e64 v52, v45, v47, s[48:49]                  // 000000006D94: D1000034 00C25F2D
	v_cmp_u_f32_e64 s[48:49], v189, v189                       // 000000006D9C: D0480030 00037BBD
	v_add3_u32 v45, v189, v48, 1                               // 000000006DA4: D1FF002D 020661BD
	v_cndmask_b32_e64 v53, v45, v47, s[48:49]                  // 000000006DAC: D1000035 00C25F2D
	v_perm_b32 v186, v53, v52, s52                             // 000000006DB4: D1ED00BA 00D26935
	v_cmp_u_f32_e64 s[48:49], v190, v190                       // 000000006DBC: D0480030 00037DBE
	v_add3_u32 v45, v190, v48, 1                               // 000000006DC4: D1FF002D 020661BE
	v_cndmask_b32_e64 v52, v45, v47, s[48:49]                  // 000000006DCC: D1000034 00C25F2D
	v_cmp_u_f32_e64 s[48:49], v191, v191                       // 000000006DD4: D0480030 00037FBF
	v_add3_u32 v45, v191, v48, 1                               // 000000006DDC: D1FF002D 020661BF
	v_cndmask_b32_e64 v53, v45, v47, s[48:49]                  // 000000006DE4: D1000035 00C25F2D
	v_perm_b32 v187, v53, v52, s52                             // 000000006DEC: D1ED00BB 00D26935
	v_cmp_u_f32_e64 s[48:49], v192, v192                       // 000000006DF4: D0480030 000381C0
	v_add3_u32 v45, v192, v48, 1                               // 000000006DFC: D1FF002D 020661C0
	v_cndmask_b32_e64 v52, v45, v47, s[48:49]                  // 000000006E04: D1000034 00C25F2D
	v_cmp_u_f32_e64 s[48:49], v193, v193                       // 000000006E0C: D0480030 000383C1
	v_add3_u32 v45, v193, v48, 1                               // 000000006E14: D1FF002D 020661C1
	v_cndmask_b32_e64 v53, v45, v47, s[48:49]                  // 000000006E1C: D1000035 00C25F2D
	v_perm_b32 v188, v53, v52, s52                             // 000000006E24: D1ED00BC 00D26935
	v_cmp_u_f32_e64 s[48:49], v194, v194                       // 000000006E2C: D0480030 000385C2
	v_add3_u32 v45, v194, v48, 1                               // 000000006E34: D1FF002D 020661C2
	v_cndmask_b32_e64 v52, v45, v47, s[48:49]                  // 000000006E3C: D1000034 00C25F2D
	v_cmp_u_f32_e64 s[48:49], v195, v195                       // 000000006E44: D0480030 000387C3
	v_add3_u32 v45, v195, v48, 1                               // 000000006E4C: D1FF002D 020661C3
	v_cndmask_b32_e64 v53, v45, v47, s[48:49]                  // 000000006E54: D1000035 00C25F2D
	v_perm_b32 v189, v53, v52, s52                             // 000000006E5C: D1ED00BD 00D26935
	v_cmp_u_f32_e64 s[48:49], v196, v196                       // 000000006E64: D0480030 000389C4
	v_add3_u32 v45, v196, v48, 1                               // 000000006E6C: D1FF002D 020661C4
	v_cndmask_b32_e64 v52, v45, v47, s[48:49]                  // 000000006E74: D1000034 00C25F2D
	v_cmp_u_f32_e64 s[48:49], v197, v197                       // 000000006E7C: D0480030 00038BC5
	v_add3_u32 v45, v197, v48, 1                               // 000000006E84: D1FF002D 020661C5
	v_cndmask_b32_e64 v53, v45, v47, s[48:49]                  // 000000006E8C: D1000035 00C25F2D
	v_perm_b32 v190, v53, v52, s52                             // 000000006E94: D1ED00BE 00D26935
	v_cmp_u_f32_e64 s[48:49], v198, v198                       // 000000006E9C: D0480030 00038DC6
	v_add3_u32 v45, v198, v48, 1                               // 000000006EA4: D1FF002D 020661C6
	v_cndmask_b32_e64 v52, v45, v47, s[48:49]                  // 000000006EAC: D1000034 00C25F2D
	v_cmp_u_f32_e64 s[48:49], v199, v199                       // 000000006EB4: D0480030 00038FC7
	v_add3_u32 v45, v199, v48, 1                               // 000000006EBC: D1FF002D 020661C7
	v_cndmask_b32_e64 v53, v45, v47, s[48:49]                  // 000000006EC4: D1000035 00C25F2D
	v_perm_b32 v191, v53, v52, s52                             // 000000006ECC: D1ED00BF 00D26935
	v_cmp_u_f32_e64 s[48:49], v200, v200                       // 000000006ED4: D0480030 000391C8
	v_add3_u32 v45, v200, v48, 1                               // 000000006EDC: D1FF002D 020661C8
	v_cndmask_b32_e64 v52, v45, v47, s[48:49]                  // 000000006EE4: D1000034 00C25F2D
	v_cmp_u_f32_e64 s[48:49], v201, v201                       // 000000006EEC: D0480030 000393C9
	v_add3_u32 v45, v201, v48, 1                               // 000000006EF4: D1FF002D 020661C9
	v_cndmask_b32_e64 v53, v45, v47, s[48:49]                  // 000000006EFC: D1000035 00C25F2D
	v_perm_b32 v192, v53, v52, s52                             // 000000006F04: D1ED00C0 00D26935
	v_cmp_u_f32_e64 s[48:49], v202, v202                       // 000000006F0C: D0480030 000395CA
	v_add3_u32 v45, v202, v48, 1                               // 000000006F14: D1FF002D 020661CA
	v_cndmask_b32_e64 v52, v45, v47, s[48:49]                  // 000000006F1C: D1000034 00C25F2D
	v_cmp_u_f32_e64 s[48:49], v203, v203                       // 000000006F24: D0480030 000397CB
	v_add3_u32 v45, v203, v48, 1                               // 000000006F2C: D1FF002D 020661CB
	v_cndmask_b32_e64 v53, v45, v47, s[48:49]                  // 000000006F34: D1000035 00C25F2D
	v_perm_b32 v193, v53, v52, s52                             // 000000006F3C: D1ED00C1 00D26935
	v_cmp_u_f32_e64 s[48:49], v204, v204                       // 000000006F44: D0480030 000399CC
	v_add3_u32 v45, v204, v48, 1                               // 000000006F4C: D1FF002D 020661CC
	v_cndmask_b32_e64 v52, v45, v47, s[48:49]                  // 000000006F54: D1000034 00C25F2D
	v_cmp_u_f32_e64 s[48:49], v205, v205                       // 000000006F5C: D0480030 00039BCD
	v_add3_u32 v45, v205, v48, 1                               // 000000006F64: D1FF002D 020661CD
	v_cndmask_b32_e64 v53, v45, v47, s[48:49]                  // 000000006F6C: D1000035 00C25F2D
	v_perm_b32 v194, v53, v52, s52                             // 000000006F74: D1ED00C2 00D26935
	v_cmp_u_f32_e64 s[48:49], v206, v206                       // 000000006F7C: D0480030 00039DCE
	v_add3_u32 v45, v206, v48, 1                               // 000000006F84: D1FF002D 020661CE
	v_cndmask_b32_e64 v52, v45, v47, s[48:49]                  // 000000006F8C: D1000034 00C25F2D
	v_cmp_u_f32_e64 s[48:49], v207, v207                       // 000000006F94: D0480030 00039FCF
	v_add3_u32 v45, v207, v48, 1                               // 000000006F9C: D1FF002D 020661CF
	v_cndmask_b32_e64 v53, v45, v47, s[48:49]                  // 000000006FA4: D1000035 00C25F2D
	v_perm_b32 v195, v53, v52, s52                             // 000000006FAC: D1ED00C3 00D26935
	v_cmp_u_f32_e64 s[48:49], v208, v208                       // 000000006FB4: D0480030 0003A1D0
	v_add3_u32 v45, v208, v48, 1                               // 000000006FBC: D1FF002D 020661D0
	v_cndmask_b32_e64 v52, v45, v47, s[48:49]                  // 000000006FC4: D1000034 00C25F2D
	v_cmp_u_f32_e64 s[48:49], v209, v209                       // 000000006FCC: D0480030 0003A3D1
	v_add3_u32 v45, v209, v48, 1                               // 000000006FD4: D1FF002D 020661D1
	v_cndmask_b32_e64 v53, v45, v47, s[48:49]                  // 000000006FDC: D1000035 00C25F2D
	v_perm_b32 v196, v53, v52, s52                             // 000000006FE4: D1ED00C4 00D26935
	v_cmp_u_f32_e64 s[48:49], v210, v210                       // 000000006FEC: D0480030 0003A5D2
	v_add3_u32 v45, v210, v48, 1                               // 000000006FF4: D1FF002D 020661D2
	v_cndmask_b32_e64 v52, v45, v47, s[48:49]                  // 000000006FFC: D1000034 00C25F2D
	v_cmp_u_f32_e64 s[48:49], v211, v211                       // 000000007004: D0480030 0003A7D3
	v_add3_u32 v45, v211, v48, 1                               // 00000000700C: D1FF002D 020661D3
	v_cndmask_b32_e64 v53, v45, v47, s[48:49]                  // 000000007014: D1000035 00C25F2D
	v_perm_b32 v197, v53, v52, s52                             // 00000000701C: D1ED00C5 00D26935
	v_cmp_u_f32_e64 s[48:49], v212, v212                       // 000000007024: D0480030 0003A9D4
	v_add3_u32 v45, v212, v48, 1                               // 00000000702C: D1FF002D 020661D4
	v_cndmask_b32_e64 v52, v45, v47, s[48:49]                  // 000000007034: D1000034 00C25F2D
	v_cmp_u_f32_e64 s[48:49], v213, v213                       // 00000000703C: D0480030 0003ABD5
	v_add3_u32 v45, v213, v48, 1                               // 000000007044: D1FF002D 020661D5
	v_cndmask_b32_e64 v53, v45, v47, s[48:49]                  // 00000000704C: D1000035 00C25F2D
	v_perm_b32 v198, v53, v52, s52                             // 000000007054: D1ED00C6 00D26935
	v_cmp_u_f32_e64 s[48:49], v214, v214                       // 00000000705C: D0480030 0003ADD6
	v_add3_u32 v45, v214, v48, 1                               // 000000007064: D1FF002D 020661D6
	v_cndmask_b32_e64 v52, v45, v47, s[48:49]                  // 00000000706C: D1000034 00C25F2D
	v_cmp_u_f32_e64 s[48:49], v215, v215                       // 000000007074: D0480030 0003AFD7
	v_add3_u32 v45, v215, v48, 1                               // 00000000707C: D1FF002D 020661D7
	v_cndmask_b32_e64 v53, v45, v47, s[48:49]                  // 000000007084: D1000035 00C25F2D
	v_perm_b32 v199, v53, v52, s52                             // 00000000708C: D1ED00C7 00D26935
	ds_write_b64 v3, v[184:185] offset:33024                   // 000000007094: D89A8100 0000B803
	ds_write_b64 v3, v[186:187] offset:41728                   // 00000000709C: D89AA300 0000BA03
	ds_write_b64 v3, v[188:189] offset:35200                   // 0000000070A4: D89A8980 0000BC03
	ds_write_b64 v3, v[190:191] offset:43904                   // 0000000070AC: D89AAB80 0000BE03
	ds_write_b64 v3, v[192:193] offset:37376                   // 0000000070B4: D89A9200 0000C003
	ds_write_b64 v3, v[194:195] offset:46080                   // 0000000070BC: D89AB400 0000C203
	ds_write_b64 v3, v[196:197] offset:39552                   // 0000000070C4: D89A9A80 0000C403
	ds_write_b64 v3, v[198:199] offset:48256                   // 0000000070CC: D89ABC80 0000C603
	s_waitcnt lgkmcnt(0)                                       // 0000000070D4: BF8CC07F
	s_barrier                                                  // 0000000070D8: BF8A0000
	ds_read_b32 v64, v4 offset:33024                           // 0000000070DC: D86C8100 40000004
	ds_read_b32 v65, v4 offset:37376                           // 0000000070E4: D86C9200 41000004
	ds_read_b32 v66, v4 offset:33056                           // 0000000070EC: D86C8120 42000004
	ds_read_b32 v67, v4 offset:37408                           // 0000000070F4: D86C9220 43000004
	ds_read_b32 v68, v4 offset:33088                           // 0000000070FC: D86C8140 44000004
	ds_read_b32 v69, v4 offset:37440                           // 000000007104: D86C9240 45000004
	ds_read_b32 v70, v4 offset:33120                           // 00000000710C: D86C8160 46000004
	ds_read_b32 v71, v4 offset:37472                           // 000000007114: D86C9260 47000004
	ds_read_b32 v72, v4 offset:41728                           // 00000000711C: D86CA300 48000004
	ds_read_b32 v73, v4 offset:46080                           // 000000007124: D86CB400 49000004
	ds_read_b32 v74, v4 offset:41760                           // 00000000712C: D86CA320 4A000004
	ds_read_b32 v75, v4 offset:46112                           // 000000007134: D86CB420 4B000004
	ds_read_b32 v76, v4 offset:41792                           // 00000000713C: D86CA340 4C000004
	ds_read_b32 v77, v4 offset:46144                           // 000000007144: D86CB440 4D000004
	ds_read_b32 v78, v4 offset:41824                           // 00000000714C: D86CA360 4E000004
	ds_read_b32 v79, v4 offset:46176                           // 000000007154: D86CB460 4F000004
	s_waitcnt lgkmcnt(0)                                       // 00000000715C: BF8CC07F
	s_mov_b64 exec, s[20:21]                                   // 000000007160: BEFE0114
	global_atomic_pk_add_f16 v80, v64, s[8:9]                  // 000000007164: DD388000 00084050
	s_mov_b64 exec, s[36:37]                                   // 00000000716C: BEFE0124
	s_mov_b64 exec, s[20:21]                                   // 000000007170: BEFE0114
	global_atomic_pk_add_f16 v80, v65, s[8:9] offset:256       // 000000007174: DD388100 00084150
	s_mov_b64 exec, s[36:37]                                   // 00000000717C: BEFE0124
	s_mov_b64 exec, s[22:23]                                   // 000000007180: BEFE0116
	global_atomic_pk_add_f16 v82, v66, s[8:9]                  // 000000007184: DD388000 00084252
	s_mov_b64 exec, s[36:37]                                   // 00000000718C: BEFE0124
	s_mov_b64 exec, s[22:23]                                   // 000000007190: BEFE0116
	global_atomic_pk_add_f16 v82, v67, s[8:9] offset:256       // 000000007194: DD388100 00084352
	s_mov_b64 exec, s[36:37]                                   // 00000000719C: BEFE0124
	s_mov_b64 exec, s[24:25]                                   // 0000000071A0: BEFE0118
	global_atomic_pk_add_f16 v84, v68, s[8:9]                  // 0000000071A4: DD388000 00084454
	s_mov_b64 exec, s[36:37]                                   // 0000000071AC: BEFE0124
	s_mov_b64 exec, s[24:25]                                   // 0000000071B0: BEFE0118
	global_atomic_pk_add_f16 v84, v69, s[8:9] offset:256       // 0000000071B4: DD388100 00084554
	s_mov_b64 exec, s[36:37]                                   // 0000000071BC: BEFE0124
	s_mov_b64 exec, s[26:27]                                   // 0000000071C0: BEFE011A
	global_atomic_pk_add_f16 v86, v70, s[8:9]                  // 0000000071C4: DD388000 00084656
	s_mov_b64 exec, s[36:37]                                   // 0000000071CC: BEFE0124
	s_mov_b64 exec, s[26:27]                                   // 0000000071D0: BEFE011A
	global_atomic_pk_add_f16 v86, v71, s[8:9] offset:256       // 0000000071D4: DD388100 00084756
	s_mov_b64 exec, s[36:37]                                   // 0000000071DC: BEFE0124
	s_mov_b64 exec, s[28:29]                                   // 0000000071E0: BEFE011C
	global_atomic_pk_add_f16 v88, v72, s[8:9]                  // 0000000071E4: DD388000 00084858
	s_mov_b64 exec, s[36:37]                                   // 0000000071EC: BEFE0124
	s_mov_b64 exec, s[28:29]                                   // 0000000071F0: BEFE011C
	global_atomic_pk_add_f16 v88, v73, s[8:9] offset:256       // 0000000071F4: DD388100 00084958
	s_mov_b64 exec, s[36:37]                                   // 0000000071FC: BEFE0124
	s_mov_b64 exec, s[30:31]                                   // 000000007200: BEFE011E
	global_atomic_pk_add_f16 v90, v74, s[8:9]                  // 000000007204: DD388000 00084A5A
	s_mov_b64 exec, s[36:37]                                   // 00000000720C: BEFE0124
	s_mov_b64 exec, s[30:31]                                   // 000000007210: BEFE011E
	global_atomic_pk_add_f16 v90, v75, s[8:9] offset:256       // 000000007214: DD388100 00084B5A
	s_mov_b64 exec, s[36:37]                                   // 00000000721C: BEFE0124
	s_mov_b64 exec, s[32:33]                                   // 000000007220: BEFE0120
	global_atomic_pk_add_f16 v92, v76, s[8:9]                  // 000000007224: DD388000 00084C5C
	s_mov_b64 exec, s[36:37]                                   // 00000000722C: BEFE0124
	s_mov_b64 exec, s[32:33]                                   // 000000007230: BEFE0120
	global_atomic_pk_add_f16 v92, v77, s[8:9] offset:256       // 000000007234: DD388100 00084D5C
	s_mov_b64 exec, s[36:37]                                   // 00000000723C: BEFE0124
	s_mov_b64 exec, s[34:35]                                   // 000000007240: BEFE0122
	global_atomic_pk_add_f16 v94, v78, s[8:9]                  // 000000007244: DD388000 00084E5E
	s_mov_b64 exec, s[36:37]                                   // 00000000724C: BEFE0124
	s_mov_b64 exec, s[34:35]                                   // 000000007250: BEFE0122
	global_atomic_pk_add_f16 v94, v79, s[8:9] offset:256       // 000000007254: DD388100 00084F5E
	s_mov_b64 exec, s[36:37]                                   // 00000000725C: BEFE0124
	s_add_u32 s8, s59, s8                                      // 000000007260: 8008083B
	s_addc_u32 s9, 0, s9                                       // 000000007264: 82090980
	s_addk_i32 s80, 0x100                                      // 000000007268: B7500100
	s_cmp_lt_i32 s80, s81                                      // 00000000726C: BF045150
	s_cbranch_scc0 label_140E                                  // 000000007270: BF8402F1
	s_waitcnt vmcnt(41)                                        // 000000007274: BF8C8F79
	s_barrier                                                  // 000000007278: BF8A0000
	v_mfma_f32_16x16x32_fp8_fp8 v[216:219], a[112:113], v[128:129], 0// 00000000727C: D3F300D8 0A030170
	v_mfma_f32_16x16x32_fp8_fp8 v[216:219], a[114:115], v[130:131], v[216:219]// 000000007284: D3F300D8 0F630572
	buffer_load_dwordx4 a[0:3], v41, s[12:15], 0 offen         // 00000000728C: E05C1000 80830029
	v_mfma_f32_16x16x32_fp8_fp8 v[220:223], a[112:113], v[156:157], 0// 000000007294: D3F300DC 0A033970
	v_mfma_f32_16x16x32_fp8_fp8 v[220:223], a[114:115], v[158:159], v[220:223]// 00000000729C: D3F300DC 0F733D72
	v_mfma_f32_16x16x32_fp8_fp8 v[224:227], a[116:117], v[128:129], 0// 0000000072A4: D3F300E0 0A030174
	v_mfma_f32_16x16x32_fp8_fp8 v[224:227], a[118:119], v[130:131], v[224:227]// 0000000072AC: D3F300E0 0F830576
	buffer_load_dwordx4 a[4:7], v42, s[12:15], 0 offen         // 0000000072B4: E05C1000 8083042A
	v_mfma_f32_16x16x32_fp8_fp8 v[228:231], a[116:117], v[156:157], 0// 0000000072BC: D3F300E4 0A033974
	v_mfma_f32_16x16x32_fp8_fp8 v[228:231], a[118:119], v[158:159], v[228:231]// 0000000072C4: D3F300E4 0F933D76
	v_mfma_f32_16x16x32_fp8_fp8 v[232:235], a[120:121], v[128:129], 0// 0000000072CC: D3F300E8 0A030178
	v_mfma_f32_16x16x32_fp8_fp8 v[232:235], a[122:123], v[130:131], v[232:235]// 0000000072D4: D3F300E8 0FA3057A
	buffer_load_dwordx4 a[8:11], v43, s[12:15], 0 offen        // 0000000072DC: E05C1000 8083082B
	v_mfma_f32_16x16x32_fp8_fp8 v[236:239], a[120:121], v[156:157], 0// 0000000072E4: D3F300EC 0A033978
	v_mfma_f32_16x16x32_fp8_fp8 v[236:239], a[122:123], v[158:159], v[236:239]// 0000000072EC: D3F300EC 0FB33D7A
	v_mfma_f32_16x16x32_fp8_fp8 v[240:243], a[124:125], v[128:129], 0// 0000000072F4: D3F300F0 0A03017C
	v_mfma_f32_16x16x32_fp8_fp8 v[240:243], a[126:127], v[130:131], v[240:243]// 0000000072FC: D3F300F0 0FC3057E
	buffer_load_dwordx4 a[12:15], v44, s[12:15], 0 offen       // 000000007304: E05C1000 80830C2C
	s_add_u32 s12, s78, s12                                    // 00000000730C: 800C0C4E
	s_addc_u32 s13, 0, s13                                     // 000000007310: 820D0D80
	v_mfma_f32_16x16x32_fp8_fp8 v[244:247], a[124:125], v[156:157], 0// 000000007314: D3F300F4 0A03397C
	v_mfma_f32_16x16x32_fp8_fp8 v[244:247], a[126:127], v[158:159], v[244:247]// 00000000731C: D3F300F4 0FD33D7E
	s_waitcnt vmcnt(41)                                        // 000000007324: BF8C8F79
	v_mfma_f32_16x16x32_fp8_fp8 v[216:219], a[128:129], v[132:133], v[216:219]// 000000007328: D3F300D8 0F630980
	v_mfma_f32_16x16x32_fp8_fp8 v[216:219], a[130:131], v[134:135], v[216:219]// 000000007330: D3F300D8 0F630D82
	buffer_load_dwordx4 a[16:19], v41, s[12:15], 0 offen       // 000000007338: E05C1000 80831029
	v_mfma_f32_16x16x32_fp8_fp8 v[220:223], a[128:129], v[160:161], v[220:223]// 000000007340: D3F300DC 0F734180
	v_mfma_f32_16x16x32_fp8_fp8 v[220:223], a[130:131], v[162:163], v[220:223]// 000000007348: D3F300DC 0F734582
	v_mfma_f32_16x16x32_fp8_fp8 v[224:227], a[132:133], v[132:133], v[224:227]// 000000007350: D3F300E0 0F830984
	v_mfma_f32_16x16x32_fp8_fp8 v[224:227], a[134:135], v[134:135], v[224:227]// 000000007358: D3F300E0 0F830D86
	buffer_load_dwordx4 a[20:23], v42, s[12:15], 0 offen       // 000000007360: E05C1000 8083142A
	v_mfma_f32_16x16x32_fp8_fp8 v[228:231], a[132:133], v[160:161], v[228:231]// 000000007368: D3F300E4 0F934184
	v_mfma_f32_16x16x32_fp8_fp8 v[228:231], a[134:135], v[162:163], v[228:231]// 000000007370: D3F300E4 0F934586
	v_mfma_f32_16x16x32_fp8_fp8 v[232:235], a[136:137], v[132:133], v[232:235]// 000000007378: D3F300E8 0FA30988
	v_mfma_f32_16x16x32_fp8_fp8 v[232:235], a[138:139], v[134:135], v[232:235]// 000000007380: D3F300E8 0FA30D8A
	buffer_load_dwordx4 a[24:27], v43, s[12:15], 0 offen       // 000000007388: E05C1000 8083182B
	v_mfma_f32_16x16x32_fp8_fp8 v[236:239], a[136:137], v[160:161], v[236:239]// 000000007390: D3F300EC 0FB34188
	v_mfma_f32_16x16x32_fp8_fp8 v[236:239], a[138:139], v[162:163], v[236:239]// 000000007398: D3F300EC 0FB3458A
	v_mfma_f32_16x16x32_fp8_fp8 v[240:243], a[140:141], v[132:133], v[240:243]// 0000000073A0: D3F300F0 0FC3098C
	v_mfma_f32_16x16x32_fp8_fp8 v[240:243], a[142:143], v[134:135], v[240:243]// 0000000073A8: D3F300F0 0FC30D8E
	buffer_load_dwordx4 a[28:31], v44, s[12:15], 0 offen       // 0000000073B0: E05C1000 80831C2C
	s_add_u32 s12, s78, s12                                    // 0000000073B8: 800C0C4E
	s_addc_u32 s13, 0, s13                                     // 0000000073BC: 820D0D80
	v_mfma_f32_16x16x32_fp8_fp8 v[244:247], a[140:141], v[160:161], v[244:247]// 0000000073C0: D3F300F4 0FD3418C
	v_mfma_f32_16x16x32_fp8_fp8 v[244:247], a[142:143], v[162:163], v[244:247]// 0000000073C8: D3F300F4 0FD3458E
	s_waitcnt vmcnt(41)                                        // 0000000073D0: BF8C8F79
	v_mfma_f32_16x16x32_fp8_fp8 v[216:219], a[144:145], v[136:137], v[216:219]// 0000000073D4: D3F300D8 0F631190
	v_mfma_f32_16x16x32_fp8_fp8 v[216:219], a[146:147], v[138:139], v[216:219]// 0000000073DC: D3F300D8 0F631592
	buffer_load_dwordx4 a[32:35], v41, s[12:15], 0 offen       // 0000000073E4: E05C1000 80832029
	v_mfma_f32_16x16x32_fp8_fp8 v[220:223], a[144:145], v[164:165], v[220:223]// 0000000073EC: D3F300DC 0F734990
	v_mfma_f32_16x16x32_fp8_fp8 v[220:223], a[146:147], v[166:167], v[220:223]// 0000000073F4: D3F300DC 0F734D92
	v_mfma_f32_16x16x32_fp8_fp8 v[224:227], a[148:149], v[136:137], v[224:227]// 0000000073FC: D3F300E0 0F831194
	v_mfma_f32_16x16x32_fp8_fp8 v[224:227], a[150:151], v[138:139], v[224:227]// 000000007404: D3F300E0 0F831596
	buffer_load_dwordx4 a[36:39], v42, s[12:15], 0 offen       // 00000000740C: E05C1000 8083242A
	v_mfma_f32_16x16x32_fp8_fp8 v[228:231], a[148:149], v[164:165], v[228:231]// 000000007414: D3F300E4 0F934994
	v_mfma_f32_16x16x32_fp8_fp8 v[228:231], a[150:151], v[166:167], v[228:231]// 00000000741C: D3F300E4 0F934D96
	v_mfma_f32_16x16x32_fp8_fp8 v[232:235], a[152:153], v[136:137], v[232:235]// 000000007424: D3F300E8 0FA31198
	v_mfma_f32_16x16x32_fp8_fp8 v[232:235], a[154:155], v[138:139], v[232:235]// 00000000742C: D3F300E8 0FA3159A
	buffer_load_dwordx4 a[40:43], v43, s[12:15], 0 offen       // 000000007434: E05C1000 8083282B
	v_mfma_f32_16x16x32_fp8_fp8 v[236:239], a[152:153], v[164:165], v[236:239]// 00000000743C: D3F300EC 0FB34998
	v_mfma_f32_16x16x32_fp8_fp8 v[236:239], a[154:155], v[166:167], v[236:239]// 000000007444: D3F300EC 0FB34D9A
	v_mfma_f32_16x16x32_fp8_fp8 v[240:243], a[156:157], v[136:137], v[240:243]// 00000000744C: D3F300F0 0FC3119C
	v_mfma_f32_16x16x32_fp8_fp8 v[240:243], a[158:159], v[138:139], v[240:243]// 000000007454: D3F300F0 0FC3159E
	buffer_load_dwordx4 a[44:47], v44, s[12:15], 0 offen       // 00000000745C: E05C1000 80832C2C
	s_add_u32 s12, s78, s12                                    // 000000007464: 800C0C4E
	s_addc_u32 s13, 0, s13                                     // 000000007468: 820D0D80
	v_mfma_f32_16x16x32_fp8_fp8 v[244:247], a[156:157], v[164:165], v[244:247]// 00000000746C: D3F300F4 0FD3499C
	v_mfma_f32_16x16x32_fp8_fp8 v[244:247], a[158:159], v[166:167], v[244:247]// 000000007474: D3F300F4 0FD34D9E
	s_waitcnt vmcnt(41)                                        // 00000000747C: BF8C8F79
	v_mfma_f32_16x16x32_fp8_fp8 v[216:219], a[160:161], v[140:141], v[216:219]// 000000007480: D3F300D8 0F6319A0
	v_mfma_f32_16x16x32_fp8_fp8 v[216:219], a[162:163], v[142:143], v[216:219]// 000000007488: D3F300D8 0F631DA2
	buffer_load_dwordx4 a[48:51], v41, s[12:15], 0 offen       // 000000007490: E05C1000 80833029
	v_mfma_f32_16x16x32_fp8_fp8 v[220:223], a[160:161], v[168:169], v[220:223]// 000000007498: D3F300DC 0F7351A0
	v_mfma_f32_16x16x32_fp8_fp8 v[220:223], a[162:163], v[170:171], v[220:223]// 0000000074A0: D3F300DC 0F7355A2
	v_mfma_f32_16x16x32_fp8_fp8 v[224:227], a[164:165], v[140:141], v[224:227]// 0000000074A8: D3F300E0 0F8319A4
	v_mfma_f32_16x16x32_fp8_fp8 v[224:227], a[166:167], v[142:143], v[224:227]// 0000000074B0: D3F300E0 0F831DA6
	buffer_load_dwordx4 a[52:55], v42, s[12:15], 0 offen       // 0000000074B8: E05C1000 8083342A
	v_mfma_f32_16x16x32_fp8_fp8 v[228:231], a[164:165], v[168:169], v[228:231]// 0000000074C0: D3F300E4 0F9351A4
	v_mfma_f32_16x16x32_fp8_fp8 v[228:231], a[166:167], v[170:171], v[228:231]// 0000000074C8: D3F300E4 0F9355A6
	v_mfma_f32_16x16x32_fp8_fp8 v[232:235], a[168:169], v[140:141], v[232:235]// 0000000074D0: D3F300E8 0FA319A8
	v_mfma_f32_16x16x32_fp8_fp8 v[232:235], a[170:171], v[142:143], v[232:235]// 0000000074D8: D3F300E8 0FA31DAA
	buffer_load_dwordx4 a[56:59], v43, s[12:15], 0 offen       // 0000000074E0: E05C1000 8083382B
	v_mfma_f32_16x16x32_fp8_fp8 v[236:239], a[168:169], v[168:169], v[236:239]// 0000000074E8: D3F300EC 0FB351A8
	v_mfma_f32_16x16x32_fp8_fp8 v[236:239], a[170:171], v[170:171], v[236:239]// 0000000074F0: D3F300EC 0FB355AA
	v_mfma_f32_16x16x32_fp8_fp8 v[240:243], a[172:173], v[140:141], v[240:243]// 0000000074F8: D3F300F0 0FC319AC
	v_mfma_f32_16x16x32_fp8_fp8 v[240:243], a[174:175], v[142:143], v[240:243]// 000000007500: D3F300F0 0FC31DAE
	buffer_load_dwordx4 a[60:63], v44, s[12:15], 0 offen       // 000000007508: E05C1000 80833C2C
	s_add_u32 s12, s78, s12                                    // 000000007510: 800C0C4E
	s_addc_u32 s13, 0, s13                                     // 000000007514: 820D0D80
	v_mfma_f32_16x16x32_fp8_fp8 v[244:247], a[172:173], v[168:169], v[244:247]// 000000007518: D3F300F4 0FD351AC
	v_mfma_f32_16x16x32_fp8_fp8 v[244:247], a[174:175], v[170:171], v[244:247]// 000000007520: D3F300F4 0FD355AE
	s_waitcnt vmcnt(41)                                        // 000000007528: BF8C8F79
	v_mfma_f32_16x16x32_fp8_fp8 v[216:219], a[176:177], v[144:145], v[216:219]// 00000000752C: D3F300D8 0F6321B0
	v_mfma_f32_16x16x32_fp8_fp8 v[216:219], a[178:179], v[146:147], v[216:219]// 000000007534: D3F300D8 0F6325B2
	buffer_load_dwordx4 a[64:67], v41, s[12:15], 0 offen       // 00000000753C: E05C1000 80834029
	v_mfma_f32_16x16x32_fp8_fp8 v[220:223], a[176:177], v[172:173], v[220:223]// 000000007544: D3F300DC 0F7359B0
	v_mfma_f32_16x16x32_fp8_fp8 v[220:223], a[178:179], v[174:175], v[220:223]// 00000000754C: D3F300DC 0F735DB2
	v_mfma_f32_16x16x32_fp8_fp8 v[224:227], a[180:181], v[144:145], v[224:227]// 000000007554: D3F300E0 0F8321B4
	v_mfma_f32_16x16x32_fp8_fp8 v[224:227], a[182:183], v[146:147], v[224:227]// 00000000755C: D3F300E0 0F8325B6
	buffer_load_dwordx4 a[68:71], v42, s[12:15], 0 offen       // 000000007564: E05C1000 8083442A
	v_mfma_f32_16x16x32_fp8_fp8 v[228:231], a[180:181], v[172:173], v[228:231]// 00000000756C: D3F300E4 0F9359B4
	v_mfma_f32_16x16x32_fp8_fp8 v[228:231], a[182:183], v[174:175], v[228:231]// 000000007574: D3F300E4 0F935DB6
	v_mfma_f32_16x16x32_fp8_fp8 v[232:235], a[184:185], v[144:145], v[232:235]// 00000000757C: D3F300E8 0FA321B8
	v_mfma_f32_16x16x32_fp8_fp8 v[232:235], a[186:187], v[146:147], v[232:235]// 000000007584: D3F300E8 0FA325BA
	buffer_load_dwordx4 a[72:75], v43, s[12:15], 0 offen       // 00000000758C: E05C1000 8083482B
	v_mfma_f32_16x16x32_fp8_fp8 v[236:239], a[184:185], v[172:173], v[236:239]// 000000007594: D3F300EC 0FB359B8
	v_mfma_f32_16x16x32_fp8_fp8 v[236:239], a[186:187], v[174:175], v[236:239]// 00000000759C: D3F300EC 0FB35DBA
	v_mfma_f32_16x16x32_fp8_fp8 v[240:243], a[188:189], v[144:145], v[240:243]// 0000000075A4: D3F300F0 0FC321BC
	v_mfma_f32_16x16x32_fp8_fp8 v[240:243], a[190:191], v[146:147], v[240:243]// 0000000075AC: D3F300F0 0FC325BE
	buffer_load_dwordx4 a[76:79], v44, s[12:15], 0 offen       // 0000000075B4: E05C1000 80834C2C
	s_add_u32 s12, s78, s12                                    // 0000000075BC: 800C0C4E
	s_addc_u32 s13, 0, s13                                     // 0000000075C0: 820D0D80
	v_mfma_f32_16x16x32_fp8_fp8 v[244:247], a[188:189], v[172:173], v[244:247]// 0000000075C4: D3F300F4 0FD359BC
	v_mfma_f32_16x16x32_fp8_fp8 v[244:247], a[190:191], v[174:175], v[244:247]// 0000000075CC: D3F300F4 0FD35DBE
	s_waitcnt vmcnt(41)                                        // 0000000075D4: BF8C8F79
	v_mfma_f32_16x16x32_fp8_fp8 v[216:219], a[192:193], v[148:149], v[216:219]// 0000000075D8: D3F300D8 0F6329C0
	v_mfma_f32_16x16x32_fp8_fp8 v[216:219], a[194:195], v[150:151], v[216:219]// 0000000075E0: D3F300D8 0F632DC2
	buffer_load_dwordx4 a[80:83], v41, s[12:15], 0 offen       // 0000000075E8: E05C1000 80835029
	v_mfma_f32_16x16x32_fp8_fp8 v[220:223], a[192:193], v[176:177], v[220:223]// 0000000075F0: D3F300DC 0F7361C0
	v_mfma_f32_16x16x32_fp8_fp8 v[220:223], a[194:195], v[178:179], v[220:223]// 0000000075F8: D3F300DC 0F7365C2
	v_mfma_f32_16x16x32_fp8_fp8 v[224:227], a[196:197], v[148:149], v[224:227]// 000000007600: D3F300E0 0F8329C4
	v_mfma_f32_16x16x32_fp8_fp8 v[224:227], a[198:199], v[150:151], v[224:227]// 000000007608: D3F300E0 0F832DC6
	buffer_load_dwordx4 a[84:87], v42, s[12:15], 0 offen       // 000000007610: E05C1000 8083542A
	v_mfma_f32_16x16x32_fp8_fp8 v[228:231], a[196:197], v[176:177], v[228:231]// 000000007618: D3F300E4 0F9361C4
	v_mfma_f32_16x16x32_fp8_fp8 v[228:231], a[198:199], v[178:179], v[228:231]// 000000007620: D3F300E4 0F9365C6
	v_mfma_f32_16x16x32_fp8_fp8 v[232:235], a[200:201], v[148:149], v[232:235]// 000000007628: D3F300E8 0FA329C8
	v_mfma_f32_16x16x32_fp8_fp8 v[232:235], a[202:203], v[150:151], v[232:235]// 000000007630: D3F300E8 0FA32DCA
	buffer_load_dwordx4 a[88:91], v43, s[12:15], 0 offen       // 000000007638: E05C1000 8083582B
	v_mfma_f32_16x16x32_fp8_fp8 v[236:239], a[200:201], v[176:177], v[236:239]// 000000007640: D3F300EC 0FB361C8
	v_mfma_f32_16x16x32_fp8_fp8 v[236:239], a[202:203], v[178:179], v[236:239]// 000000007648: D3F300EC 0FB365CA
	v_mfma_f32_16x16x32_fp8_fp8 v[240:243], a[204:205], v[148:149], v[240:243]// 000000007650: D3F300F0 0FC329CC
	v_mfma_f32_16x16x32_fp8_fp8 v[240:243], a[206:207], v[150:151], v[240:243]// 000000007658: D3F300F0 0FC32DCE
	buffer_load_dwordx4 a[92:95], v44, s[12:15], 0 offen       // 000000007660: E05C1000 80835C2C
	s_add_u32 s12, s78, s12                                    // 000000007668: 800C0C4E
	s_addc_u32 s13, 0, s13                                     // 00000000766C: 820D0D80
	v_mfma_f32_16x16x32_fp8_fp8 v[244:247], a[204:205], v[176:177], v[244:247]// 000000007670: D3F300F4 0FD361CC
	v_mfma_f32_16x16x32_fp8_fp8 v[244:247], a[206:207], v[178:179], v[244:247]// 000000007678: D3F300F4 0FD365CE
	s_waitcnt vmcnt(40)                                        // 000000007680: BF8C8F78
	v_mfma_f32_16x16x32_fp8_fp8 v[216:219], a[208:209], v[152:153], v[216:219]// 000000007684: D3F300D8 0F6331D0
	v_mfma_f32_16x16x32_fp8_fp8 v[216:219], a[210:211], v[154:155], v[216:219]// 00000000768C: D3F300D8 0F6335D2
	buffer_load_dwordx4 a[96:99], v41, s[12:15], 0 offen       // 000000007694: E05C1000 80836029
	v_mfma_f32_16x16x32_fp8_fp8 v[220:223], a[208:209], v[180:181], v[220:223]// 00000000769C: D3F300DC 0F7369D0
	v_mfma_f32_16x16x32_fp8_fp8 v[220:223], a[210:211], v[182:183], v[220:223]// 0000000076A4: D3F300DC 0F736DD2
	buffer_load_dword v12, v5, s[16:19], 0 offen               // 0000000076AC: E0501000 80040C05
	v_mfma_f32_16x16x32_fp8_fp8 v[224:227], a[212:213], v[152:153], v[224:227]// 0000000076B4: D3F300E0 0F8331D4
	v_mfma_f32_16x16x32_fp8_fp8 v[224:227], a[214:215], v[154:155], v[224:227]// 0000000076BC: D3F300E0 0F8335D6
	buffer_load_dwordx4 a[100:103], v42, s[12:15], 0 offen     // 0000000076C4: E05C1000 8083642A
	v_mfma_f32_16x16x32_fp8_fp8 v[228:231], a[212:213], v[180:181], v[228:231]// 0000000076CC: D3F300E4 0F9369D4
	v_mfma_f32_16x16x32_fp8_fp8 v[228:231], a[214:215], v[182:183], v[228:231]// 0000000076D4: D3F300E4 0F936DD6
	v_mfma_f32_16x16x32_fp8_fp8 v[232:235], a[216:217], v[152:153], v[232:235]// 0000000076DC: D3F300E8 0FA331D8
	v_mfma_f32_16x16x32_fp8_fp8 v[232:235], a[218:219], v[154:155], v[232:235]// 0000000076E4: D3F300E8 0FA335DA
	buffer_load_dwordx4 a[104:107], v43, s[12:15], 0 offen     // 0000000076EC: E05C1000 8083682B
	v_mfma_f32_16x16x32_fp8_fp8 v[236:239], a[216:217], v[180:181], v[236:239]// 0000000076F4: D3F300EC 0FB369D8
	v_mfma_f32_16x16x32_fp8_fp8 v[236:239], a[218:219], v[182:183], v[236:239]// 0000000076FC: D3F300EC 0FB36DDA
	v_mfma_f32_16x16x32_fp8_fp8 v[240:243], a[220:221], v[152:153], v[240:243]// 000000007704: D3F300F0 0FC331DC
	v_mfma_f32_16x16x32_fp8_fp8 v[240:243], a[222:223], v[154:155], v[240:243]// 00000000770C: D3F300F0 0FC335DE
	buffer_load_dwordx4 a[108:111], v44, s[12:15], 0 offen     // 000000007714: E05C1000 80836C2C
	v_mfma_f32_16x16x32_fp8_fp8 v[244:247], a[220:221], v[180:181], v[244:247]// 00000000771C: D3F300F4 0FD369DC
	v_mfma_f32_16x16x32_fp8_fp8 v[244:247], a[222:223], v[182:183], v[244:247]// 000000007724: D3F300F4 0FD36DDE
	s_add_u32 s60, 0x200, s80                                  // 00000000772C: 803C50FF 00000200
	s_cmp_lt_u32 s60, s81                                      // 000000007734: BF0A513C
	s_cselect_b32 s56, s56, 0                                  // 000000007738: 85388038
	s_cselect_b32 s78, s78, 0                                  // 00000000773C: 854E804E
	s_cselect_b32 s79, s79, 0                                  // 000000007740: 854F804F
	s_add_u32 s12, s56, s12                                    // 000000007744: 800C0C38
	s_addc_u32 s13, 0, s13                                     // 000000007748: 820D0D80
	s_add_u32 s16, s79, s16                                    // 00000000774C: 8010104F
	s_addc_u32 s17, 0, s17                                     // 000000007750: 82111180
	v_mul_f32_e32 v216, v24, v216                              // 000000007754: 0BB1B118
	v_mul_f32_e32 v217, v24, v217                              // 000000007758: 0BB3B318
	v_mul_f32_e32 v218, v24, v218                              // 00000000775C: 0BB5B518
	v_mul_f32_e32 v219, v24, v219                              // 000000007760: 0BB7B718
	v_mul_f32_dpp v216, v13, v216 row_newbcast:0 row_mask:0xf bank_mask:0xf// 000000007764: 0BB1B0FA FF01500D
	v_mul_f32_dpp v217, v13, v217 row_newbcast:1 row_mask:0xf bank_mask:0xf// 00000000776C: 0BB3B2FA FF01510D
	v_mul_f32_dpp v218, v13, v218 row_newbcast:2 row_mask:0xf bank_mask:0xf// 000000007774: 0BB5B4FA FF01520D
	v_mul_f32_dpp v219, v13, v219 row_newbcast:3 row_mask:0xf bank_mask:0xf// 00000000777C: 0BB7B6FA FF01530D
	v_mul_f32_e32 v220, v25, v220                              // 000000007784: 0BB9B919
	v_mul_f32_e32 v221, v25, v221                              // 000000007788: 0BBBBB19
	v_mul_f32_e32 v222, v25, v222                              // 00000000778C: 0BBDBD19
	v_mul_f32_e32 v223, v25, v223                              // 000000007790: 0BBFBF19
	v_mul_f32_dpp v220, v13, v220 row_newbcast:0 row_mask:0xf bank_mask:0xf// 000000007794: 0BB9B8FA FF01500D
	v_mul_f32_dpp v221, v13, v221 row_newbcast:1 row_mask:0xf bank_mask:0xf// 00000000779C: 0BBBBAFA FF01510D
	v_mul_f32_dpp v222, v13, v222 row_newbcast:2 row_mask:0xf bank_mask:0xf// 0000000077A4: 0BBDBCFA FF01520D
	v_mul_f32_dpp v223, v13, v223 row_newbcast:3 row_mask:0xf bank_mask:0xf// 0000000077AC: 0BBFBEFA FF01530D
	v_mul_f32_e32 v224, v24, v224                              // 0000000077B4: 0BC1C118
	v_mul_f32_e32 v225, v24, v225                              // 0000000077B8: 0BC3C318
	v_mul_f32_e32 v226, v24, v226                              // 0000000077BC: 0BC5C518
	v_mul_f32_e32 v227, v24, v227                              // 0000000077C0: 0BC7C718
	v_mul_f32_dpp v224, v13, v224 row_newbcast:4 row_mask:0xf bank_mask:0xf// 0000000077C4: 0BC1C0FA FF01540D
	v_mul_f32_dpp v225, v13, v225 row_newbcast:5 row_mask:0xf bank_mask:0xf// 0000000077CC: 0BC3C2FA FF01550D
	v_mul_f32_dpp v226, v13, v226 row_newbcast:6 row_mask:0xf bank_mask:0xf// 0000000077D4: 0BC5C4FA FF01560D
	v_mul_f32_dpp v227, v13, v227 row_newbcast:7 row_mask:0xf bank_mask:0xf// 0000000077DC: 0BC7C6FA FF01570D
	v_mul_f32_e32 v228, v25, v228                              // 0000000077E4: 0BC9C919
	v_mul_f32_e32 v229, v25, v229                              // 0000000077E8: 0BCBCB19
	v_mul_f32_e32 v230, v25, v230                              // 0000000077EC: 0BCDCD19
	v_mul_f32_e32 v231, v25, v231                              // 0000000077F0: 0BCFCF19
	v_mul_f32_dpp v228, v13, v228 row_newbcast:4 row_mask:0xf bank_mask:0xf// 0000000077F4: 0BC9C8FA FF01540D
	v_mul_f32_dpp v229, v13, v229 row_newbcast:5 row_mask:0xf bank_mask:0xf// 0000000077FC: 0BCBCAFA FF01550D
	v_mul_f32_dpp v230, v13, v230 row_newbcast:6 row_mask:0xf bank_mask:0xf// 000000007804: 0BCDCCFA FF01560D
	v_mul_f32_dpp v231, v13, v231 row_newbcast:7 row_mask:0xf bank_mask:0xf// 00000000780C: 0BCFCEFA FF01570D
	v_mul_f32_e32 v232, v24, v232                              // 000000007814: 0BD1D118
	v_mul_f32_e32 v233, v24, v233                              // 000000007818: 0BD3D318
	v_mul_f32_e32 v234, v24, v234                              // 00000000781C: 0BD5D518
	v_mul_f32_e32 v235, v24, v235                              // 000000007820: 0BD7D718
	v_mul_f32_dpp v232, v13, v232 row_newbcast:8 row_mask:0xf bank_mask:0xf// 000000007824: 0BD1D0FA FF01580D
	v_mul_f32_dpp v233, v13, v233 row_newbcast:9 row_mask:0xf bank_mask:0xf// 00000000782C: 0BD3D2FA FF01590D
	v_mul_f32_dpp v234, v13, v234 row_newbcast:10 row_mask:0xf bank_mask:0xf// 000000007834: 0BD5D4FA FF015A0D
	v_mul_f32_dpp v235, v13, v235 row_newbcast:11 row_mask:0xf bank_mask:0xf// 00000000783C: 0BD7D6FA FF015B0D
	v_mul_f32_e32 v236, v25, v236                              // 000000007844: 0BD9D919
	v_mul_f32_e32 v237, v25, v237                              // 000000007848: 0BDBDB19
	v_mul_f32_e32 v238, v25, v238                              // 00000000784C: 0BDDDD19
	v_mul_f32_e32 v239, v25, v239                              // 000000007850: 0BDFDF19
	v_mul_f32_dpp v236, v13, v236 row_newbcast:8 row_mask:0xf bank_mask:0xf// 000000007854: 0BD9D8FA FF01580D
	v_mul_f32_dpp v237, v13, v237 row_newbcast:9 row_mask:0xf bank_mask:0xf// 00000000785C: 0BDBDAFA FF01590D
	v_mul_f32_dpp v238, v13, v238 row_newbcast:10 row_mask:0xf bank_mask:0xf// 000000007864: 0BDDDCFA FF015A0D
	v_mul_f32_dpp v239, v13, v239 row_newbcast:11 row_mask:0xf bank_mask:0xf// 00000000786C: 0BDFDEFA FF015B0D
	v_mul_f32_e32 v240, v24, v240                              // 000000007874: 0BE1E118
	v_mul_f32_e32 v241, v24, v241                              // 000000007878: 0BE3E318
	v_mul_f32_e32 v242, v24, v242                              // 00000000787C: 0BE5E518
	v_mul_f32_e32 v243, v24, v243                              // 000000007880: 0BE7E718
	v_mul_f32_dpp v240, v13, v240 row_newbcast:12 row_mask:0xf bank_mask:0xf// 000000007884: 0BE1E0FA FF015C0D
	v_mul_f32_dpp v241, v13, v241 row_newbcast:13 row_mask:0xf bank_mask:0xf// 00000000788C: 0BE3E2FA FF015D0D
	v_mul_f32_dpp v242, v13, v242 row_newbcast:14 row_mask:0xf bank_mask:0xf// 000000007894: 0BE5E4FA FF015E0D
	v_mul_f32_dpp v243, v13, v243 row_newbcast:15 row_mask:0xf bank_mask:0xf// 00000000789C: 0BE7E6FA FF015F0D
	v_mul_f32_e32 v244, v25, v244                              // 0000000078A4: 0BE9E919
	v_mul_f32_e32 v245, v25, v245                              // 0000000078A8: 0BEBEB19
	v_mul_f32_e32 v246, v25, v246                              // 0000000078AC: 0BEDED19
	v_mul_f32_e32 v247, v25, v247                              // 0000000078B0: 0BEFEF19
	v_mul_f32_dpp v244, v13, v244 row_newbcast:12 row_mask:0xf bank_mask:0xf// 0000000078B4: 0BE9E8FA FF015C0D
	v_mul_f32_dpp v245, v13, v245 row_newbcast:13 row_mask:0xf bank_mask:0xf// 0000000078BC: 0BEBEAFA FF015D0D
	v_mul_f32_dpp v246, v13, v246 row_newbcast:14 row_mask:0xf bank_mask:0xf// 0000000078C4: 0BEDECFA FF015E0D
	v_mul_f32_dpp v247, v13, v247 row_newbcast:15 row_mask:0xf bank_mask:0xf// 0000000078CC: 0BEFEEFA FF015F0D
	v_cmp_u_f32_e64 s[48:49], v216, v216                       // 0000000078D4: D0480030 0003B1D8
	v_add3_u32 v45, v216, v48, 1                               // 0000000078DC: D1FF002D 020661D8
	v_cndmask_b32_e64 v52, v45, v47, s[48:49]                  // 0000000078E4: D1000034 00C25F2D
	v_cmp_u_f32_e64 s[48:49], v217, v217                       // 0000000078EC: D0480030 0003B3D9
	v_add3_u32 v45, v217, v48, 1                               // 0000000078F4: D1FF002D 020661D9
	v_cndmask_b32_e64 v53, v45, v47, s[48:49]                  // 0000000078FC: D1000035 00C25F2D
	v_perm_b32 v216, v53, v52, s52                             // 000000007904: D1ED00D8 00D26935
	v_cmp_u_f32_e64 s[48:49], v218, v218                       // 00000000790C: D0480030 0003B5DA
	v_add3_u32 v45, v218, v48, 1                               // 000000007914: D1FF002D 020661DA
	v_cndmask_b32_e64 v52, v45, v47, s[48:49]                  // 00000000791C: D1000034 00C25F2D
	v_cmp_u_f32_e64 s[48:49], v219, v219                       // 000000007924: D0480030 0003B7DB
	v_add3_u32 v45, v219, v48, 1                               // 00000000792C: D1FF002D 020661DB
	v_cndmask_b32_e64 v53, v45, v47, s[48:49]                  // 000000007934: D1000035 00C25F2D
	v_perm_b32 v217, v53, v52, s52                             // 00000000793C: D1ED00D9 00D26935
	v_cmp_u_f32_e64 s[48:49], v220, v220                       // 000000007944: D0480030 0003B9DC
	v_add3_u32 v45, v220, v48, 1                               // 00000000794C: D1FF002D 020661DC
	v_cndmask_b32_e64 v52, v45, v47, s[48:49]                  // 000000007954: D1000034 00C25F2D
	v_cmp_u_f32_e64 s[48:49], v221, v221                       // 00000000795C: D0480030 0003BBDD
	v_add3_u32 v45, v221, v48, 1                               // 000000007964: D1FF002D 020661DD
	v_cndmask_b32_e64 v53, v45, v47, s[48:49]                  // 00000000796C: D1000035 00C25F2D
	v_perm_b32 v218, v53, v52, s52                             // 000000007974: D1ED00DA 00D26935
	v_cmp_u_f32_e64 s[48:49], v222, v222                       // 00000000797C: D0480030 0003BDDE
	v_add3_u32 v45, v222, v48, 1                               // 000000007984: D1FF002D 020661DE
	v_cndmask_b32_e64 v52, v45, v47, s[48:49]                  // 00000000798C: D1000034 00C25F2D
	v_cmp_u_f32_e64 s[48:49], v223, v223                       // 000000007994: D0480030 0003BFDF
	v_add3_u32 v45, v223, v48, 1                               // 00000000799C: D1FF002D 020661DF
	v_cndmask_b32_e64 v53, v45, v47, s[48:49]                  // 0000000079A4: D1000035 00C25F2D
	v_perm_b32 v219, v53, v52, s52                             // 0000000079AC: D1ED00DB 00D26935
	v_cmp_u_f32_e64 s[48:49], v224, v224                       // 0000000079B4: D0480030 0003C1E0
	v_add3_u32 v45, v224, v48, 1                               // 0000000079BC: D1FF002D 020661E0
	v_cndmask_b32_e64 v52, v45, v47, s[48:49]                  // 0000000079C4: D1000034 00C25F2D
	v_cmp_u_f32_e64 s[48:49], v225, v225                       // 0000000079CC: D0480030 0003C3E1
	v_add3_u32 v45, v225, v48, 1                               // 0000000079D4: D1FF002D 020661E1
	v_cndmask_b32_e64 v53, v45, v47, s[48:49]                  // 0000000079DC: D1000035 00C25F2D
	v_perm_b32 v220, v53, v52, s52                             // 0000000079E4: D1ED00DC 00D26935
	v_cmp_u_f32_e64 s[48:49], v226, v226                       // 0000000079EC: D0480030 0003C5E2
	v_add3_u32 v45, v226, v48, 1                               // 0000000079F4: D1FF002D 020661E2
	v_cndmask_b32_e64 v52, v45, v47, s[48:49]                  // 0000000079FC: D1000034 00C25F2D
	v_cmp_u_f32_e64 s[48:49], v227, v227                       // 000000007A04: D0480030 0003C7E3
	v_add3_u32 v45, v227, v48, 1                               // 000000007A0C: D1FF002D 020661E3
	v_cndmask_b32_e64 v53, v45, v47, s[48:49]                  // 000000007A14: D1000035 00C25F2D
	v_perm_b32 v221, v53, v52, s52                             // 000000007A1C: D1ED00DD 00D26935
	v_cmp_u_f32_e64 s[48:49], v228, v228                       // 000000007A24: D0480030 0003C9E4
	v_add3_u32 v45, v228, v48, 1                               // 000000007A2C: D1FF002D 020661E4
	v_cndmask_b32_e64 v52, v45, v47, s[48:49]                  // 000000007A34: D1000034 00C25F2D
	v_cmp_u_f32_e64 s[48:49], v229, v229                       // 000000007A3C: D0480030 0003CBE5
	v_add3_u32 v45, v229, v48, 1                               // 000000007A44: D1FF002D 020661E5
	v_cndmask_b32_e64 v53, v45, v47, s[48:49]                  // 000000007A4C: D1000035 00C25F2D
	v_perm_b32 v222, v53, v52, s52                             // 000000007A54: D1ED00DE 00D26935
	v_cmp_u_f32_e64 s[48:49], v230, v230                       // 000000007A5C: D0480030 0003CDE6
	v_add3_u32 v45, v230, v48, 1                               // 000000007A64: D1FF002D 020661E6
	v_cndmask_b32_e64 v52, v45, v47, s[48:49]                  // 000000007A6C: D1000034 00C25F2D
	v_cmp_u_f32_e64 s[48:49], v231, v231                       // 000000007A74: D0480030 0003CFE7
	v_add3_u32 v45, v231, v48, 1                               // 000000007A7C: D1FF002D 020661E7
	v_cndmask_b32_e64 v53, v45, v47, s[48:49]                  // 000000007A84: D1000035 00C25F2D
	v_perm_b32 v223, v53, v52, s52                             // 000000007A8C: D1ED00DF 00D26935
	v_cmp_u_f32_e64 s[48:49], v232, v232                       // 000000007A94: D0480030 0003D1E8
	v_add3_u32 v45, v232, v48, 1                               // 000000007A9C: D1FF002D 020661E8
	v_cndmask_b32_e64 v52, v45, v47, s[48:49]                  // 000000007AA4: D1000034 00C25F2D
	v_cmp_u_f32_e64 s[48:49], v233, v233                       // 000000007AAC: D0480030 0003D3E9
	v_add3_u32 v45, v233, v48, 1                               // 000000007AB4: D1FF002D 020661E9
	v_cndmask_b32_e64 v53, v45, v47, s[48:49]                  // 000000007ABC: D1000035 00C25F2D
	v_perm_b32 v224, v53, v52, s52                             // 000000007AC4: D1ED00E0 00D26935
	v_cmp_u_f32_e64 s[48:49], v234, v234                       // 000000007ACC: D0480030 0003D5EA
	v_add3_u32 v45, v234, v48, 1                               // 000000007AD4: D1FF002D 020661EA
	v_cndmask_b32_e64 v52, v45, v47, s[48:49]                  // 000000007ADC: D1000034 00C25F2D
	v_cmp_u_f32_e64 s[48:49], v235, v235                       // 000000007AE4: D0480030 0003D7EB
	v_add3_u32 v45, v235, v48, 1                               // 000000007AEC: D1FF002D 020661EB
	v_cndmask_b32_e64 v53, v45, v47, s[48:49]                  // 000000007AF4: D1000035 00C25F2D
	v_perm_b32 v225, v53, v52, s52                             // 000000007AFC: D1ED00E1 00D26935
	v_cmp_u_f32_e64 s[48:49], v236, v236                       // 000000007B04: D0480030 0003D9EC
	v_add3_u32 v45, v236, v48, 1                               // 000000007B0C: D1FF002D 020661EC
	v_cndmask_b32_e64 v52, v45, v47, s[48:49]                  // 000000007B14: D1000034 00C25F2D
	v_cmp_u_f32_e64 s[48:49], v237, v237                       // 000000007B1C: D0480030 0003DBED
	v_add3_u32 v45, v237, v48, 1                               // 000000007B24: D1FF002D 020661ED
	v_cndmask_b32_e64 v53, v45, v47, s[48:49]                  // 000000007B2C: D1000035 00C25F2D
	v_perm_b32 v226, v53, v52, s52                             // 000000007B34: D1ED00E2 00D26935
	v_cmp_u_f32_e64 s[48:49], v238, v238                       // 000000007B3C: D0480030 0003DDEE
	v_add3_u32 v45, v238, v48, 1                               // 000000007B44: D1FF002D 020661EE
	v_cndmask_b32_e64 v52, v45, v47, s[48:49]                  // 000000007B4C: D1000034 00C25F2D
	v_cmp_u_f32_e64 s[48:49], v239, v239                       // 000000007B54: D0480030 0003DFEF
	v_add3_u32 v45, v239, v48, 1                               // 000000007B5C: D1FF002D 020661EF
	v_cndmask_b32_e64 v53, v45, v47, s[48:49]                  // 000000007B64: D1000035 00C25F2D
	v_perm_b32 v227, v53, v52, s52                             // 000000007B6C: D1ED00E3 00D26935
	v_cmp_u_f32_e64 s[48:49], v240, v240                       // 000000007B74: D0480030 0003E1F0
	v_add3_u32 v45, v240, v48, 1                               // 000000007B7C: D1FF002D 020661F0
	v_cndmask_b32_e64 v52, v45, v47, s[48:49]                  // 000000007B84: D1000034 00C25F2D
	v_cmp_u_f32_e64 s[48:49], v241, v241                       // 000000007B8C: D0480030 0003E3F1
	v_add3_u32 v45, v241, v48, 1                               // 000000007B94: D1FF002D 020661F1
	v_cndmask_b32_e64 v53, v45, v47, s[48:49]                  // 000000007B9C: D1000035 00C25F2D
	v_perm_b32 v228, v53, v52, s52                             // 000000007BA4: D1ED00E4 00D26935
	v_cmp_u_f32_e64 s[48:49], v242, v242                       // 000000007BAC: D0480030 0003E5F2
	v_add3_u32 v45, v242, v48, 1                               // 000000007BB4: D1FF002D 020661F2
	v_cndmask_b32_e64 v52, v45, v47, s[48:49]                  // 000000007BBC: D1000034 00C25F2D
	v_cmp_u_f32_e64 s[48:49], v243, v243                       // 000000007BC4: D0480030 0003E7F3
	v_add3_u32 v45, v243, v48, 1                               // 000000007BCC: D1FF002D 020661F3
	v_cndmask_b32_e64 v53, v45, v47, s[48:49]                  // 000000007BD4: D1000035 00C25F2D
	v_perm_b32 v229, v53, v52, s52                             // 000000007BDC: D1ED00E5 00D26935
	v_cmp_u_f32_e64 s[48:49], v244, v244                       // 000000007BE4: D0480030 0003E9F4
	v_add3_u32 v45, v244, v48, 1                               // 000000007BEC: D1FF002D 020661F4
	v_cndmask_b32_e64 v52, v45, v47, s[48:49]                  // 000000007BF4: D1000034 00C25F2D
	v_cmp_u_f32_e64 s[48:49], v245, v245                       // 000000007BFC: D0480030 0003EBF5
	v_add3_u32 v45, v245, v48, 1                               // 000000007C04: D1FF002D 020661F5
	v_cndmask_b32_e64 v53, v45, v47, s[48:49]                  // 000000007C0C: D1000035 00C25F2D
	v_perm_b32 v230, v53, v52, s52                             // 000000007C14: D1ED00E6 00D26935
	v_cmp_u_f32_e64 s[48:49], v246, v246                       // 000000007C1C: D0480030 0003EDF6
	v_add3_u32 v45, v246, v48, 1                               // 000000007C24: D1FF002D 020661F6
	v_cndmask_b32_e64 v52, v45, v47, s[48:49]                  // 000000007C2C: D1000034 00C25F2D
	v_cmp_u_f32_e64 s[48:49], v247, v247                       // 000000007C34: D0480030 0003EFF7
	v_add3_u32 v45, v247, v48, 1                               // 000000007C3C: D1FF002D 020661F7
	v_cndmask_b32_e64 v53, v45, v47, s[48:49]                  // 000000007C44: D1000035 00C25F2D
	v_perm_b32 v231, v53, v52, s52                             // 000000007C4C: D1ED00E7 00D26935
	ds_write_b64 v3, v[216:217] offset:33024                   // 000000007C54: D89A8100 0000D803
	ds_write_b64 v3, v[218:219] offset:41728                   // 000000007C5C: D89AA300 0000DA03
	ds_write_b64 v3, v[220:221] offset:35200                   // 000000007C64: D89A8980 0000DC03
	ds_write_b64 v3, v[222:223] offset:43904                   // 000000007C6C: D89AAB80 0000DE03
	ds_write_b64 v3, v[224:225] offset:37376                   // 000000007C74: D89A9200 0000E003
	ds_write_b64 v3, v[226:227] offset:46080                   // 000000007C7C: D89AB400 0000E203
	ds_write_b64 v3, v[228:229] offset:39552                   // 000000007C84: D89A9A80 0000E403
	ds_write_b64 v3, v[230:231] offset:48256                   // 000000007C8C: D89ABC80 0000E603
	s_waitcnt lgkmcnt(0)                                       // 000000007C94: BF8CC07F
	s_barrier                                                  // 000000007C98: BF8A0000
	ds_read_b32 v64, v4 offset:33024                           // 000000007C9C: D86C8100 40000004
	ds_read_b32 v65, v4 offset:37376                           // 000000007CA4: D86C9200 41000004
	ds_read_b32 v66, v4 offset:33056                           // 000000007CAC: D86C8120 42000004
	ds_read_b32 v67, v4 offset:37408                           // 000000007CB4: D86C9220 43000004
	ds_read_b32 v68, v4 offset:33088                           // 000000007CBC: D86C8140 44000004
	ds_read_b32 v69, v4 offset:37440                           // 000000007CC4: D86C9240 45000004
	ds_read_b32 v70, v4 offset:33120                           // 000000007CCC: D86C8160 46000004
	ds_read_b32 v71, v4 offset:37472                           // 000000007CD4: D86C9260 47000004
	ds_read_b32 v72, v4 offset:41728                           // 000000007CDC: D86CA300 48000004
	ds_read_b32 v73, v4 offset:46080                           // 000000007CE4: D86CB400 49000004
	ds_read_b32 v74, v4 offset:41760                           // 000000007CEC: D86CA320 4A000004
	ds_read_b32 v75, v4 offset:46112                           // 000000007CF4: D86CB420 4B000004
	ds_read_b32 v76, v4 offset:41792                           // 000000007CFC: D86CA340 4C000004
	ds_read_b32 v77, v4 offset:46144                           // 000000007D04: D86CB440 4D000004
	ds_read_b32 v78, v4 offset:41824                           // 000000007D0C: D86CA360 4E000004
	ds_read_b32 v79, v4 offset:46176                           // 000000007D14: D86CB460 4F000004
	s_waitcnt lgkmcnt(0)                                       // 000000007D1C: BF8CC07F
	s_mov_b64 exec, s[20:21]                                   // 000000007D20: BEFE0114
	global_atomic_pk_add_f16 v80, v64, s[8:9]                  // 000000007D24: DD388000 00084050
	s_mov_b64 exec, s[36:37]                                   // 000000007D2C: BEFE0124
	s_mov_b64 exec, s[20:21]                                   // 000000007D30: BEFE0114
	global_atomic_pk_add_f16 v80, v65, s[8:9] offset:256       // 000000007D34: DD388100 00084150
	s_mov_b64 exec, s[36:37]                                   // 000000007D3C: BEFE0124
	s_mov_b64 exec, s[22:23]                                   // 000000007D40: BEFE0116
	global_atomic_pk_add_f16 v82, v66, s[8:9]                  // 000000007D44: DD388000 00084252
	s_mov_b64 exec, s[36:37]                                   // 000000007D4C: BEFE0124
	s_mov_b64 exec, s[22:23]                                   // 000000007D50: BEFE0116
	global_atomic_pk_add_f16 v82, v67, s[8:9] offset:256       // 000000007D54: DD388100 00084352
	s_mov_b64 exec, s[36:37]                                   // 000000007D5C: BEFE0124
	s_mov_b64 exec, s[24:25]                                   // 000000007D60: BEFE0118
	global_atomic_pk_add_f16 v84, v68, s[8:9]                  // 000000007D64: DD388000 00084454
	s_mov_b64 exec, s[36:37]                                   // 000000007D6C: BEFE0124
	s_mov_b64 exec, s[24:25]                                   // 000000007D70: BEFE0118
	global_atomic_pk_add_f16 v84, v69, s[8:9] offset:256       // 000000007D74: DD388100 00084554
	s_mov_b64 exec, s[36:37]                                   // 000000007D7C: BEFE0124
	s_mov_b64 exec, s[26:27]                                   // 000000007D80: BEFE011A
	global_atomic_pk_add_f16 v86, v70, s[8:9]                  // 000000007D84: DD388000 00084656
	s_mov_b64 exec, s[36:37]                                   // 000000007D8C: BEFE0124
	s_mov_b64 exec, s[26:27]                                   // 000000007D90: BEFE011A
	global_atomic_pk_add_f16 v86, v71, s[8:9] offset:256       // 000000007D94: DD388100 00084756
	s_mov_b64 exec, s[36:37]                                   // 000000007D9C: BEFE0124
	s_mov_b64 exec, s[28:29]                                   // 000000007DA0: BEFE011C
	global_atomic_pk_add_f16 v88, v72, s[8:9]                  // 000000007DA4: DD388000 00084858
	s_mov_b64 exec, s[36:37]                                   // 000000007DAC: BEFE0124
	s_mov_b64 exec, s[28:29]                                   // 000000007DB0: BEFE011C
	global_atomic_pk_add_f16 v88, v73, s[8:9] offset:256       // 000000007DB4: DD388100 00084958
	s_mov_b64 exec, s[36:37]                                   // 000000007DBC: BEFE0124
	s_mov_b64 exec, s[30:31]                                   // 000000007DC0: BEFE011E
	global_atomic_pk_add_f16 v90, v74, s[8:9]                  // 000000007DC4: DD388000 00084A5A
	s_mov_b64 exec, s[36:37]                                   // 000000007DCC: BEFE0124
	s_mov_b64 exec, s[30:31]                                   // 000000007DD0: BEFE011E
	global_atomic_pk_add_f16 v90, v75, s[8:9] offset:256       // 000000007DD4: DD388100 00084B5A
	s_mov_b64 exec, s[36:37]                                   // 000000007DDC: BEFE0124
	s_mov_b64 exec, s[32:33]                                   // 000000007DE0: BEFE0120
	global_atomic_pk_add_f16 v92, v76, s[8:9]                  // 000000007DE4: DD388000 00084C5C
	s_mov_b64 exec, s[36:37]                                   // 000000007DEC: BEFE0124
	s_mov_b64 exec, s[32:33]                                   // 000000007DF0: BEFE0120
	global_atomic_pk_add_f16 v92, v77, s[8:9] offset:256       // 000000007DF4: DD388100 00084D5C
	s_mov_b64 exec, s[36:37]                                   // 000000007DFC: BEFE0124
	s_mov_b64 exec, s[34:35]                                   // 000000007E00: BEFE0122
	global_atomic_pk_add_f16 v94, v78, s[8:9]                  // 000000007E04: DD388000 00084E5E
	s_mov_b64 exec, s[36:37]                                   // 000000007E0C: BEFE0124
	s_mov_b64 exec, s[34:35]                                   // 000000007E10: BEFE0122
	global_atomic_pk_add_f16 v94, v79, s[8:9] offset:256       // 000000007E14: DD388100 00084F5E
	s_mov_b64 exec, s[36:37]                                   // 000000007E1C: BEFE0124
	s_add_u32 s8, s59, s8                                      // 000000007E20: 8008083B
	s_addc_u32 s9, 0, s9                                       // 000000007E24: 82090980
	s_addk_i32 s80, 0x100                                      // 000000007E28: B7500100
	s_cmp_lt_i32 s80, s81                                      // 000000007E2C: BF045150
	s_cbranch_scc0 label_140E                                  // 000000007E30: BF840001
	s_branch label_0E2D                                        // 000000007E34: BF82FA1F

0000000000007e38 <label_140E>:
	s_nop 0                                                    // 000000007E38: BF800000
	s_nop 0                                                    // 000000007E3C: BF800000
	s_branch label_253E                                        // 000000007E40: BF82112D

0000000000007e44 <label_1411>:
	s_waitcnt vmcnt(20) lgkmcnt(0)                             // 000000007E44: BF8C4074
	s_barrier                                                  // 000000007E48: BF8A0000
	v_mfma_f32_16x16x32_fp8_fp8 v[128:131], a[0:1], v[184:185], v[128:131]// 000000007E4C: D3F30080 0E037100
	buffer_load_dwordx4 a[112:115], v34, s[92:95], 0 offen     // 000000007E54: E05C1000 80977022
	v_mfma_f32_16x16x32_fp8_fp8 v[128:131], a[2:3], v[186:187], v[128:131]// 000000007E5C: D3F30080 0E037502
	v_mfma_f32_16x16x32_fp8_fp8 v[128:131], a[4:5], v[188:189], v[128:131]// 000000007E64: D3F30080 0E037904
	buffer_load_dword v26, s[20:23], 0 offen lds               // 000000007E6C: E0511000 8005001A
	s_add_u32 m0, 0x100, s51                                   // 000000007E74: 807C33FF 00000100
	v_mfma_f32_16x16x32_fp8_fp8 v[128:131], a[6:7], v[190:191], v[128:131]// 000000007E7C: D3F30080 0E037D06
	v_mfma_f32_16x16x32_fp8_fp8 v[128:131], a[8:9], v[192:193], v[128:131]// 000000007E84: D3F30080 0E038108
	buffer_load_dwordx4 a[116:119], v34, s[92:95], 0 offen offset:1024// 000000007E8C: E05C1400 80977422
	v_mfma_f32_16x16x32_fp8_fp8 v[128:131], a[10:11], v[194:195], v[128:131]// 000000007E94: D3F30080 0E03850A
	v_mfma_f32_16x16x32_fp8_fp8 v[128:131], a[12:13], v[196:197], v[128:131]// 000000007E9C: D3F30080 0E03890C
	buffer_load_dword v27, s[20:23], 0 offen lds               // 000000007EA4: E0511000 8005001B
	s_add_u32 m0, 0x200, s51                                   // 000000007EAC: 807C33FF 00000200
	v_mfma_f32_16x16x32_fp8_fp8 v[128:131], a[14:15], v[198:199], v[128:131]// 000000007EB4: D3F30080 0E038D0E
	v_mfma_f32_16x16x32_fp8_fp8 v[132:135], a[0:1], v[200:201], v[132:135]// 000000007EBC: D3F30084 0E139100
	buffer_load_dwordx4 a[120:123], v34, s[92:95], 0 offen offset:2048// 000000007EC4: E05C1800 80977822
	v_mfma_f32_16x16x32_fp8_fp8 v[132:135], a[2:3], v[202:203], v[132:135]// 000000007ECC: D3F30084 0E139502
	v_mfma_f32_16x16x32_fp8_fp8 v[132:135], a[4:5], v[204:205], v[132:135]// 000000007ED4: D3F30084 0E139904
	buffer_load_dword v28, s[20:23], 0 offen lds               // 000000007EDC: E0511000 8005001C
	s_add_u32 m0, 0x300, s51                                   // 000000007EE4: 807C33FF 00000300
	v_mfma_f32_16x16x32_fp8_fp8 v[132:135], a[6:7], v[206:207], v[132:135]// 000000007EEC: D3F30084 0E139D06
	v_mfma_f32_16x16x32_fp8_fp8 v[132:135], a[8:9], v[208:209], v[132:135]// 000000007EF4: D3F30084 0E13A108
	buffer_load_dwordx4 a[124:127], v34, s[92:95], 0 offen offset:3072// 000000007EFC: E05C1C00 80977C22
	v_mfma_f32_16x16x32_fp8_fp8 v[132:135], a[10:11], v[210:211], v[132:135]// 000000007F04: D3F30084 0E13A50A
	v_mfma_f32_16x16x32_fp8_fp8 v[132:135], a[12:13], v[212:213], v[132:135]// 000000007F0C: D3F30084 0E13A90C
	buffer_load_dword v29, s[20:23], 0 offen lds               // 000000007F14: E0511000 8005001D
	s_add_u32 m0, 0x400, s51                                   // 000000007F1C: 807C33FF 00000400
	v_mfma_f32_16x16x32_fp8_fp8 v[132:135], a[14:15], v[214:215], v[132:135]// 000000007F24: D3F30084 0E13AD0E
	v_mfma_f32_16x16x32_fp8_fp8 v[136:139], a[16:17], v[184:185], v[136:139]// 000000007F2C: D3F30088 0E237110
	buffer_load_dwordx4 a[128:131], v35, s[92:95], 0 offen     // 000000007F34: E05C1000 80978023
	v_mfma_f32_16x16x32_fp8_fp8 v[136:139], a[18:19], v[186:187], v[136:139]// 000000007F3C: D3F30088 0E237512
	v_mfma_f32_16x16x32_fp8_fp8 v[136:139], a[20:21], v[188:189], v[136:139]// 000000007F44: D3F30088 0E237914
	buffer_load_dword v30, s[20:23], 0 offen lds               // 000000007F4C: E0511000 8005001E
	s_add_u32 m0, 0x500, s51                                   // 000000007F54: 807C33FF 00000500
	v_mfma_f32_16x16x32_fp8_fp8 v[136:139], a[22:23], v[190:191], v[136:139]// 000000007F5C: D3F30088 0E237D16
	v_mfma_f32_16x16x32_fp8_fp8 v[136:139], a[24:25], v[192:193], v[136:139]// 000000007F64: D3F30088 0E238118
	buffer_load_dwordx4 a[132:135], v35, s[92:95], 0 offen offset:1024// 000000007F6C: E05C1400 80978423
	v_mfma_f32_16x16x32_fp8_fp8 v[136:139], a[26:27], v[194:195], v[136:139]// 000000007F74: D3F30088 0E23851A
	v_mfma_f32_16x16x32_fp8_fp8 v[136:139], a[28:29], v[196:197], v[136:139]// 000000007F7C: D3F30088 0E23891C
	buffer_load_dword v31, s[20:23], 0 offen lds               // 000000007F84: E0511000 8005001F
	s_add_u32 m0, 0x600, s51                                   // 000000007F8C: 807C33FF 00000600
	v_mfma_f32_16x16x32_fp8_fp8 v[136:139], a[30:31], v[198:199], v[136:139]// 000000007F94: D3F30088 0E238D1E
	v_mfma_f32_16x16x32_fp8_fp8 v[140:143], a[16:17], v[200:201], v[140:143]// 000000007F9C: D3F3008C 0E339110
	buffer_load_dwordx4 a[136:139], v35, s[92:95], 0 offen offset:2048// 000000007FA4: E05C1800 80978823
	v_mfma_f32_16x16x32_fp8_fp8 v[140:143], a[18:19], v[202:203], v[140:143]// 000000007FAC: D3F3008C 0E339512
	v_mfma_f32_16x16x32_fp8_fp8 v[140:143], a[20:21], v[204:205], v[140:143]// 000000007FB4: D3F3008C 0E339914
	buffer_load_dword v32, s[20:23], 0 offen lds               // 000000007FBC: E0511000 80050020
	s_add_u32 m0, 0x700, s51                                   // 000000007FC4: 807C33FF 00000700
	v_mfma_f32_16x16x32_fp8_fp8 v[140:143], a[22:23], v[206:207], v[140:143]// 000000007FCC: D3F3008C 0E339D16
	v_mfma_f32_16x16x32_fp8_fp8 v[140:143], a[24:25], v[208:209], v[140:143]// 000000007FD4: D3F3008C 0E33A118
	buffer_load_dwordx4 a[140:143], v35, s[92:95], 0 offen offset:3072// 000000007FDC: E05C1C00 80978C23
	v_mfma_f32_16x16x32_fp8_fp8 v[140:143], a[26:27], v[210:211], v[140:143]// 000000007FE4: D3F3008C 0E33A51A
	v_mfma_f32_16x16x32_fp8_fp8 v[140:143], a[28:29], v[212:213], v[140:143]// 000000007FEC: D3F3008C 0E33A91C
	buffer_load_dword v33, s[20:23], 0 offen lds               // 000000007FF4: E0511000 80050021
	s_add_u32 m0, 0, s50                                       // 000000007FFC: 807C3280
	v_mfma_f32_16x16x32_fp8_fp8 v[140:143], a[30:31], v[214:215], v[140:143]// 000000008000: D3F3008C 0E33AD1E
	s_waitcnt vmcnt(32)                                        // 000000008008: BF8C8F70
	v_mfma_f32_16x16x32_fp8_fp8 v[144:147], a[32:33], v[184:185], v[144:147]// 00000000800C: D3F30090 0E437120
	buffer_load_dwordx4 a[144:147], v36, s[92:95], 0 offen     // 000000008014: E05C1000 80979024
	v_mfma_f32_16x16x32_fp8_fp8 v[144:147], a[34:35], v[186:187], v[144:147]// 00000000801C: D3F30090 0E437522
	v_mfma_f32_16x16x32_fp8_fp8 v[144:147], a[36:37], v[188:189], v[144:147]// 000000008024: D3F30090 0E437924
	v_mfma_f32_16x16x32_fp8_fp8 v[144:147], a[38:39], v[190:191], v[144:147]// 00000000802C: D3F30090 0E437D26
	v_mfma_f32_16x16x32_fp8_fp8 v[144:147], a[40:41], v[192:193], v[144:147]// 000000008034: D3F30090 0E438128
	buffer_load_dwordx4 a[148:151], v36, s[92:95], 0 offen offset:1024// 00000000803C: E05C1400 80979424
	v_mfma_f32_16x16x32_fp8_fp8 v[144:147], a[42:43], v[194:195], v[144:147]// 000000008044: D3F30090 0E43852A
	v_mfma_f32_16x16x32_fp8_fp8 v[144:147], a[44:45], v[196:197], v[144:147]// 00000000804C: D3F30090 0E43892C
	v_mfma_f32_16x16x32_fp8_fp8 v[144:147], a[46:47], v[198:199], v[144:147]// 000000008054: D3F30090 0E438D2E
	v_mfma_f32_16x16x32_fp8_fp8 v[148:151], a[32:33], v[200:201], v[148:151]// 00000000805C: D3F30094 0E539120
	buffer_load_dwordx4 a[152:155], v36, s[92:95], 0 offen offset:2048// 000000008064: E05C1800 80979824
	v_mfma_f32_16x16x32_fp8_fp8 v[148:151], a[34:35], v[202:203], v[148:151]// 00000000806C: D3F30094 0E539522
	v_mfma_f32_16x16x32_fp8_fp8 v[148:151], a[36:37], v[204:205], v[148:151]// 000000008074: D3F30094 0E539924
	v_mfma_f32_16x16x32_fp8_fp8 v[148:151], a[38:39], v[206:207], v[148:151]// 00000000807C: D3F30094 0E539D26
	v_mfma_f32_16x16x32_fp8_fp8 v[148:151], a[40:41], v[208:209], v[148:151]// 000000008084: D3F30094 0E53A128
	buffer_load_dwordx4 a[156:159], v36, s[92:95], 0 offen offset:3072// 00000000808C: E05C1C00 80979C24
	v_mfma_f32_16x16x32_fp8_fp8 v[148:151], a[42:43], v[210:211], v[148:151]// 000000008094: D3F30094 0E53A52A
	v_mfma_f32_16x16x32_fp8_fp8 v[148:151], a[44:45], v[212:213], v[148:151]// 00000000809C: D3F30094 0E53A92C
	v_mfma_f32_16x16x32_fp8_fp8 v[148:151], a[46:47], v[214:215], v[148:151]// 0000000080A4: D3F30094 0E53AD2E
	s_waitcnt vmcnt(32)                                        // 0000000080AC: BF8C8F70
	v_mfma_f32_16x16x32_fp8_fp8 v[152:155], a[48:49], v[184:185], v[152:155]// 0000000080B0: D3F30098 0E637130
	buffer_load_dwordx4 a[160:163], v37, s[92:95], 0 offen     // 0000000080B8: E05C1000 8097A025
	v_mfma_f32_16x16x32_fp8_fp8 v[152:155], a[50:51], v[186:187], v[152:155]// 0000000080C0: D3F30098 0E637532
	v_mfma_f32_16x16x32_fp8_fp8 v[152:155], a[52:53], v[188:189], v[152:155]// 0000000080C8: D3F30098 0E637934
	v_mfma_f32_16x16x32_fp8_fp8 v[152:155], a[54:55], v[190:191], v[152:155]// 0000000080D0: D3F30098 0E637D36
	v_mfma_f32_16x16x32_fp8_fp8 v[152:155], a[56:57], v[192:193], v[152:155]// 0000000080D8: D3F30098 0E638138
	buffer_load_dwordx4 a[164:167], v37, s[92:95], 0 offen offset:1024// 0000000080E0: E05C1400 8097A425
	v_mfma_f32_16x16x32_fp8_fp8 v[152:155], a[58:59], v[194:195], v[152:155]// 0000000080E8: D3F30098 0E63853A
	v_mfma_f32_16x16x32_fp8_fp8 v[152:155], a[60:61], v[196:197], v[152:155]// 0000000080F0: D3F30098 0E63893C
	v_mfma_f32_16x16x32_fp8_fp8 v[152:155], a[62:63], v[198:199], v[152:155]// 0000000080F8: D3F30098 0E638D3E
	v_mfma_f32_16x16x32_fp8_fp8 v[156:159], a[48:49], v[200:201], v[156:159]// 000000008100: D3F3009C 0E739130
	buffer_load_dwordx4 a[168:171], v37, s[92:95], 0 offen offset:2048// 000000008108: E05C1800 8097A825
	v_mfma_f32_16x16x32_fp8_fp8 v[156:159], a[50:51], v[202:203], v[156:159]// 000000008110: D3F3009C 0E739532
	v_mfma_f32_16x16x32_fp8_fp8 v[156:159], a[52:53], v[204:205], v[156:159]// 000000008118: D3F3009C 0E739934
	v_mfma_f32_16x16x32_fp8_fp8 v[156:159], a[54:55], v[206:207], v[156:159]// 000000008120: D3F3009C 0E739D36
	v_mfma_f32_16x16x32_fp8_fp8 v[156:159], a[56:57], v[208:209], v[156:159]// 000000008128: D3F3009C 0E73A138
	buffer_load_dwordx4 a[172:175], v37, s[92:95], 0 offen offset:3072// 000000008130: E05C1C00 8097AC25
	v_mfma_f32_16x16x32_fp8_fp8 v[156:159], a[58:59], v[210:211], v[156:159]// 000000008138: D3F3009C 0E73A53A
	v_mfma_f32_16x16x32_fp8_fp8 v[156:159], a[60:61], v[212:213], v[156:159]// 000000008140: D3F3009C 0E73A93C
	v_mfma_f32_16x16x32_fp8_fp8 v[156:159], a[62:63], v[214:215], v[156:159]// 000000008148: D3F3009C 0E73AD3E
	s_waitcnt vmcnt(32)                                        // 000000008150: BF8C8F70
	v_mfma_f32_16x16x32_fp8_fp8 v[160:163], a[64:65], v[184:185], v[160:163]// 000000008154: D3F300A0 0E837140
	buffer_load_dwordx4 a[176:179], v38, s[92:95], 0 offen     // 00000000815C: E05C1000 8097B026
	v_mfma_f32_16x16x32_fp8_fp8 v[160:163], a[66:67], v[186:187], v[160:163]// 000000008164: D3F300A0 0E837542
	v_mfma_f32_16x16x32_fp8_fp8 v[160:163], a[68:69], v[188:189], v[160:163]// 00000000816C: D3F300A0 0E837944
	v_mfma_f32_16x16x32_fp8_fp8 v[160:163], a[70:71], v[190:191], v[160:163]// 000000008174: D3F300A0 0E837D46
	v_mfma_f32_16x16x32_fp8_fp8 v[160:163], a[72:73], v[192:193], v[160:163]// 00000000817C: D3F300A0 0E838148
	buffer_load_dwordx4 a[180:183], v38, s[92:95], 0 offen offset:1024// 000000008184: E05C1400 8097B426
	v_mfma_f32_16x16x32_fp8_fp8 v[160:163], a[74:75], v[194:195], v[160:163]// 00000000818C: D3F300A0 0E83854A
	v_mfma_f32_16x16x32_fp8_fp8 v[160:163], a[76:77], v[196:197], v[160:163]// 000000008194: D3F300A0 0E83894C
	v_mfma_f32_16x16x32_fp8_fp8 v[160:163], a[78:79], v[198:199], v[160:163]// 00000000819C: D3F300A0 0E838D4E
	v_mfma_f32_16x16x32_fp8_fp8 v[164:167], a[64:65], v[200:201], v[164:167]// 0000000081A4: D3F300A4 0E939140
	buffer_load_dwordx4 a[184:187], v38, s[92:95], 0 offen offset:2048// 0000000081AC: E05C1800 8097B826
	v_mfma_f32_16x16x32_fp8_fp8 v[164:167], a[66:67], v[202:203], v[164:167]// 0000000081B4: D3F300A4 0E939542
	v_mfma_f32_16x16x32_fp8_fp8 v[164:167], a[68:69], v[204:205], v[164:167]// 0000000081BC: D3F300A4 0E939944
	v_mfma_f32_16x16x32_fp8_fp8 v[164:167], a[70:71], v[206:207], v[164:167]// 0000000081C4: D3F300A4 0E939D46
	v_mfma_f32_16x16x32_fp8_fp8 v[164:167], a[72:73], v[208:209], v[164:167]// 0000000081CC: D3F300A4 0E93A148
	buffer_load_dwordx4 a[188:191], v38, s[92:95], 0 offen offset:3072// 0000000081D4: E05C1C00 8097BC26
	v_mfma_f32_16x16x32_fp8_fp8 v[164:167], a[74:75], v[210:211], v[164:167]// 0000000081DC: D3F300A4 0E93A54A
	v_mfma_f32_16x16x32_fp8_fp8 v[164:167], a[76:77], v[212:213], v[164:167]// 0000000081E4: D3F300A4 0E93A94C
	v_mfma_f32_16x16x32_fp8_fp8 v[164:167], a[78:79], v[214:215], v[164:167]// 0000000081EC: D3F300A4 0E93AD4E
	s_waitcnt vmcnt(32)                                        // 0000000081F4: BF8C8F70
	v_mfma_f32_16x16x32_fp8_fp8 v[168:171], a[80:81], v[184:185], v[168:171]// 0000000081F8: D3F300A8 0EA37150
	buffer_load_dwordx4 a[192:195], v39, s[92:95], 0 offen     // 000000008200: E05C1000 8097C027
	v_mfma_f32_16x16x32_fp8_fp8 v[168:171], a[82:83], v[186:187], v[168:171]// 000000008208: D3F300A8 0EA37552
	v_mfma_f32_16x16x32_fp8_fp8 v[168:171], a[84:85], v[188:189], v[168:171]// 000000008210: D3F300A8 0EA37954
	v_mfma_f32_16x16x32_fp8_fp8 v[168:171], a[86:87], v[190:191], v[168:171]// 000000008218: D3F300A8 0EA37D56
	v_mfma_f32_16x16x32_fp8_fp8 v[168:171], a[88:89], v[192:193], v[168:171]// 000000008220: D3F300A8 0EA38158
	buffer_load_dwordx4 a[196:199], v39, s[92:95], 0 offen offset:1024// 000000008228: E05C1400 8097C427
	v_mfma_f32_16x16x32_fp8_fp8 v[168:171], a[90:91], v[194:195], v[168:171]// 000000008230: D3F300A8 0EA3855A
	v_mfma_f32_16x16x32_fp8_fp8 v[168:171], a[92:93], v[196:197], v[168:171]// 000000008238: D3F300A8 0EA3895C
	v_mfma_f32_16x16x32_fp8_fp8 v[168:171], a[94:95], v[198:199], v[168:171]// 000000008240: D3F300A8 0EA38D5E
	v_mfma_f32_16x16x32_fp8_fp8 v[172:175], a[80:81], v[200:201], v[172:175]// 000000008248: D3F300AC 0EB39150
	buffer_load_dwordx4 a[200:203], v39, s[92:95], 0 offen offset:2048// 000000008250: E05C1800 8097C827
	v_mfma_f32_16x16x32_fp8_fp8 v[172:175], a[82:83], v[202:203], v[172:175]// 000000008258: D3F300AC 0EB39552
	v_mfma_f32_16x16x32_fp8_fp8 v[172:175], a[84:85], v[204:205], v[172:175]// 000000008260: D3F300AC 0EB39954
	v_mfma_f32_16x16x32_fp8_fp8 v[172:175], a[86:87], v[206:207], v[172:175]// 000000008268: D3F300AC 0EB39D56
	v_mfma_f32_16x16x32_fp8_fp8 v[172:175], a[88:89], v[208:209], v[172:175]// 000000008270: D3F300AC 0EB3A158
	buffer_load_dwordx4 a[204:207], v39, s[92:95], 0 offen offset:3072// 000000008278: E05C1C00 8097CC27
	v_mfma_f32_16x16x32_fp8_fp8 v[172:175], a[90:91], v[210:211], v[172:175]// 000000008280: D3F300AC 0EB3A55A
	v_mfma_f32_16x16x32_fp8_fp8 v[172:175], a[92:93], v[212:213], v[172:175]// 000000008288: D3F300AC 0EB3A95C
	v_mfma_f32_16x16x32_fp8_fp8 v[172:175], a[94:95], v[214:215], v[172:175]// 000000008290: D3F300AC 0EB3AD5E
	s_waitcnt vmcnt(32)                                        // 000000008298: BF8C8F70
	v_mfma_f32_16x16x32_fp8_fp8 v[176:179], a[96:97], v[184:185], v[176:179]// 00000000829C: D3F300B0 0EC37160
	buffer_load_dwordx4 a[208:211], v40, s[92:95], 0 offen     // 0000000082A4: E05C1000 8097D028
	v_mfma_f32_16x16x32_fp8_fp8 v[176:179], a[98:99], v[186:187], v[176:179]// 0000000082AC: D3F300B0 0EC37562
	v_mfma_f32_16x16x32_fp8_fp8 v[176:179], a[100:101], v[188:189], v[176:179]// 0000000082B4: D3F300B0 0EC37964
	v_mfma_f32_16x16x32_fp8_fp8 v[176:179], a[102:103], v[190:191], v[176:179]// 0000000082BC: D3F300B0 0EC37D66
	v_mfma_f32_16x16x32_fp8_fp8 v[176:179], a[104:105], v[192:193], v[176:179]// 0000000082C4: D3F300B0 0EC38168
	buffer_load_dwordx4 a[212:215], v40, s[92:95], 0 offen offset:1024// 0000000082CC: E05C1400 8097D428
	v_mfma_f32_16x16x32_fp8_fp8 v[176:179], a[106:107], v[194:195], v[176:179]// 0000000082D4: D3F300B0 0EC3856A
	v_mfma_f32_16x16x32_fp8_fp8 v[176:179], a[108:109], v[196:197], v[176:179]// 0000000082DC: D3F300B0 0EC3896C
	v_mfma_f32_16x16x32_fp8_fp8 v[176:179], a[110:111], v[198:199], v[176:179]// 0000000082E4: D3F300B0 0EC38D6E
	v_mfma_f32_16x16x32_fp8_fp8 v[180:183], a[96:97], v[200:201], v[180:183]// 0000000082EC: D3F300B4 0ED39160
	buffer_load_dwordx4 a[216:219], v40, s[92:95], 0 offen offset:2048// 0000000082F4: E05C1800 8097D828
	v_mfma_f32_16x16x32_fp8_fp8 v[180:183], a[98:99], v[202:203], v[180:183]// 0000000082FC: D3F300B4 0ED39562
	v_mfma_f32_16x16x32_fp8_fp8 v[180:183], a[100:101], v[204:205], v[180:183]// 000000008304: D3F300B4 0ED39964
	v_mfma_f32_16x16x32_fp8_fp8 v[180:183], a[102:103], v[206:207], v[180:183]// 00000000830C: D3F300B4 0ED39D66
	v_mfma_f32_16x16x32_fp8_fp8 v[180:183], a[104:105], v[208:209], v[180:183]// 000000008314: D3F300B4 0ED3A168
	buffer_load_dwordx4 a[220:223], v40, s[92:95], 0 offen offset:3072// 00000000831C: E05C1C00 8097DC28
	v_mfma_f32_16x16x32_fp8_fp8 v[180:183], a[106:107], v[210:211], v[180:183]// 000000008324: D3F300B4 0ED3A56A
	v_mfma_f32_16x16x32_fp8_fp8 v[180:183], a[108:109], v[212:213], v[180:183]// 00000000832C: D3F300B4 0ED3A96C
	v_mfma_f32_16x16x32_fp8_fp8 v[180:183], a[110:111], v[214:215], v[180:183]// 000000008334: D3F300B4 0ED3AD6E
	s_waitcnt vmcnt(20)                                        // 00000000833C: BF8C4F74
	s_barrier                                                  // 000000008340: BF8A0000
	v_mfma_f32_16x16x32_fp8_fp8 v[64:67], a[112:113], v[184:185], v[64:67]// 000000008344: D3F30040 0D037170
	buffer_load_dwordx4 a[0:3], v34, s[24:27], 0 offen         // 00000000834C: E05C1000 80860022
	v_mfma_f32_16x16x32_fp8_fp8 v[64:67], a[114:115], v[186:187], v[64:67]// 000000008354: D3F30040 0D037572
	v_mfma_f32_16x16x32_fp8_fp8 v[64:67], a[116:117], v[188:189], v[64:67]// 00000000835C: D3F30040 0D037974
	v_mfma_f32_16x16x32_fp8_fp8 v[64:67], a[118:119], v[190:191], v[64:67]// 000000008364: D3F30040 0D037D76
	v_mfma_f32_16x16x32_fp8_fp8 v[64:67], a[120:121], v[192:193], v[64:67]// 00000000836C: D3F30040 0D038178
	buffer_load_dwordx4 a[4:7], v34, s[24:27], 0 offen offset:1024// 000000008374: E05C1400 80860422
	v_mfma_f32_16x16x32_fp8_fp8 v[64:67], a[122:123], v[194:195], v[64:67]// 00000000837C: D3F30040 0D03857A
	v_mfma_f32_16x16x32_fp8_fp8 v[64:67], a[124:125], v[196:197], v[64:67]// 000000008384: D3F30040 0D03897C
	v_mfma_f32_16x16x32_fp8_fp8 v[64:67], a[126:127], v[198:199], v[64:67]// 00000000838C: D3F30040 0D038D7E
	v_mfma_f32_16x16x32_fp8_fp8 v[68:71], a[112:113], v[200:201], v[68:71]// 000000008394: D3F30044 0D139170
	buffer_load_dwordx4 a[8:11], v34, s[24:27], 0 offen offset:2048// 00000000839C: E05C1800 80860822
	v_mfma_f32_16x16x32_fp8_fp8 v[68:71], a[114:115], v[202:203], v[68:71]// 0000000083A4: D3F30044 0D139572
	v_mfma_f32_16x16x32_fp8_fp8 v[68:71], a[116:117], v[204:205], v[68:71]// 0000000083AC: D3F30044 0D139974
	v_mfma_f32_16x16x32_fp8_fp8 v[68:71], a[118:119], v[206:207], v[68:71]// 0000000083B4: D3F30044 0D139D76
	v_mfma_f32_16x16x32_fp8_fp8 v[68:71], a[120:121], v[208:209], v[68:71]// 0000000083BC: D3F30044 0D13A178
	buffer_load_dwordx4 a[12:15], v34, s[24:27], 0 offen offset:3072// 0000000083C4: E05C1C00 80860C22
	v_mfma_f32_16x16x32_fp8_fp8 v[68:71], a[122:123], v[210:211], v[68:71]// 0000000083CC: D3F30044 0D13A57A
	v_mfma_f32_16x16x32_fp8_fp8 v[68:71], a[124:125], v[212:213], v[68:71]// 0000000083D4: D3F30044 0D13A97C
	v_mfma_f32_16x16x32_fp8_fp8 v[68:71], a[126:127], v[214:215], v[68:71]// 0000000083DC: D3F30044 0D13AD7E
	v_mfma_f32_16x16x32_fp8_fp8 v[72:75], a[128:129], v[184:185], v[72:75]// 0000000083E4: D3F30048 0D237180
	buffer_load_dwordx4 a[16:19], v35, s[24:27], 0 offen       // 0000000083EC: E05C1000 80861023
	v_mfma_f32_16x16x32_fp8_fp8 v[72:75], a[130:131], v[186:187], v[72:75]// 0000000083F4: D3F30048 0D237582
	v_mfma_f32_16x16x32_fp8_fp8 v[72:75], a[132:133], v[188:189], v[72:75]// 0000000083FC: D3F30048 0D237984
	v_mfma_f32_16x16x32_fp8_fp8 v[72:75], a[134:135], v[190:191], v[72:75]// 000000008404: D3F30048 0D237D86
	v_mfma_f32_16x16x32_fp8_fp8 v[72:75], a[136:137], v[192:193], v[72:75]// 00000000840C: D3F30048 0D238188
	buffer_load_dwordx4 a[20:23], v35, s[24:27], 0 offen offset:1024// 000000008414: E05C1400 80861423
	v_mfma_f32_16x16x32_fp8_fp8 v[72:75], a[138:139], v[194:195], v[72:75]// 00000000841C: D3F30048 0D23858A
	v_mfma_f32_16x16x32_fp8_fp8 v[72:75], a[140:141], v[196:197], v[72:75]// 000000008424: D3F30048 0D23898C
	v_mfma_f32_16x16x32_fp8_fp8 v[72:75], a[142:143], v[198:199], v[72:75]// 00000000842C: D3F30048 0D238D8E
	v_mfma_f32_16x16x32_fp8_fp8 v[76:79], a[128:129], v[200:201], v[76:79]// 000000008434: D3F3004C 0D339180
	buffer_load_dwordx4 a[24:27], v35, s[24:27], 0 offen offset:2048// 00000000843C: E05C1800 80861823
	v_mfma_f32_16x16x32_fp8_fp8 v[76:79], a[130:131], v[202:203], v[76:79]// 000000008444: D3F3004C 0D339582
	v_mfma_f32_16x16x32_fp8_fp8 v[76:79], a[132:133], v[204:205], v[76:79]// 00000000844C: D3F3004C 0D339984
	v_mfma_f32_16x16x32_fp8_fp8 v[76:79], a[134:135], v[206:207], v[76:79]// 000000008454: D3F3004C 0D339D86
	v_mfma_f32_16x16x32_fp8_fp8 v[76:79], a[136:137], v[208:209], v[76:79]// 00000000845C: D3F3004C 0D33A188
	buffer_load_dwordx4 a[28:31], v35, s[24:27], 0 offen offset:3072// 000000008464: E05C1C00 80861C23
	v_mfma_f32_16x16x32_fp8_fp8 v[76:79], a[138:139], v[210:211], v[76:79]// 00000000846C: D3F3004C 0D33A58A
	v_mfma_f32_16x16x32_fp8_fp8 v[76:79], a[140:141], v[212:213], v[76:79]// 000000008474: D3F3004C 0D33A98C
	v_mfma_f32_16x16x32_fp8_fp8 v[76:79], a[142:143], v[214:215], v[76:79]// 00000000847C: D3F3004C 0D33AD8E
	s_waitcnt vmcnt(24)                                        // 000000008484: BF8C4F78
	v_mfma_f32_16x16x32_fp8_fp8 v[80:83], a[144:145], v[184:185], v[80:83]// 000000008488: D3F30050 0D437190
	buffer_load_dwordx4 a[32:35], v36, s[24:27], 0 offen       // 000000008490: E05C1000 80862024
	v_mfma_f32_16x16x32_fp8_fp8 v[80:83], a[146:147], v[186:187], v[80:83]// 000000008498: D3F30050 0D437592
	v_mfma_f32_16x16x32_fp8_fp8 v[80:83], a[148:149], v[188:189], v[80:83]// 0000000084A0: D3F30050 0D437994
	ds_read_b128 v[216:219], v2 offset:8320                    // 0000000084A8: D9FE2080 D8000002
	v_mfma_f32_16x16x32_fp8_fp8 v[80:83], a[150:151], v[190:191], v[80:83]// 0000000084B0: D3F30050 0D437D96
	v_mfma_f32_16x16x32_fp8_fp8 v[80:83], a[152:153], v[192:193], v[80:83]// 0000000084B8: D3F30050 0D438198
	buffer_load_dwordx4 a[36:39], v36, s[24:27], 0 offen offset:1024// 0000000084C0: E05C1400 80862424
	v_mfma_f32_16x16x32_fp8_fp8 v[80:83], a[154:155], v[194:195], v[80:83]// 0000000084C8: D3F30050 0D43859A
	v_mfma_f32_16x16x32_fp8_fp8 v[80:83], a[156:157], v[196:197], v[80:83]// 0000000084D0: D3F30050 0D43899C
	ds_read_b128 v[220:223], v2 offset:8384                    // 0000000084D8: D9FE20C0 DC000002
	v_mfma_f32_16x16x32_fp8_fp8 v[80:83], a[158:159], v[198:199], v[80:83]// 0000000084E0: D3F30050 0D438D9E
	v_mfma_f32_16x16x32_fp8_fp8 v[84:87], a[144:145], v[200:201], v[84:87]// 0000000084E8: D3F30054 0D539190
	buffer_load_dwordx4 a[40:43], v36, s[24:27], 0 offen offset:2048// 0000000084F0: E05C1800 80862824
	v_mfma_f32_16x16x32_fp8_fp8 v[84:87], a[146:147], v[202:203], v[84:87]// 0000000084F8: D3F30054 0D539592
	v_mfma_f32_16x16x32_fp8_fp8 v[84:87], a[148:149], v[204:205], v[84:87]// 000000008500: D3F30054 0D539994
	ds_read_b128 v[224:227], v2 offset:8448                    // 000000008508: D9FE2100 E0000002
	v_mfma_f32_16x16x32_fp8_fp8 v[84:87], a[150:151], v[206:207], v[84:87]// 000000008510: D3F30054 0D539D96
	v_mfma_f32_16x16x32_fp8_fp8 v[84:87], a[152:153], v[208:209], v[84:87]// 000000008518: D3F30054 0D53A198
	buffer_load_dwordx4 a[44:47], v36, s[24:27], 0 offen offset:3072// 000000008520: E05C1C00 80862C24
	v_mfma_f32_16x16x32_fp8_fp8 v[84:87], a[154:155], v[210:211], v[84:87]// 000000008528: D3F30054 0D53A59A
	v_mfma_f32_16x16x32_fp8_fp8 v[84:87], a[156:157], v[212:213], v[84:87]// 000000008530: D3F30054 0D53A99C
	ds_read_b128 v[228:231], v2 offset:8512                    // 000000008538: D9FE2140 E4000002
	v_mfma_f32_16x16x32_fp8_fp8 v[84:87], a[158:159], v[214:215], v[84:87]// 000000008540: D3F30054 0D53AD9E
	s_waitcnt vmcnt(24)                                        // 000000008548: BF8C4F78
	v_mfma_f32_16x16x32_fp8_fp8 v[88:91], a[160:161], v[184:185], v[88:91]// 00000000854C: D3F30058 0D6371A0
	buffer_load_dwordx4 a[48:51], v37, s[24:27], 0 offen       // 000000008554: E05C1000 80863025
	v_mfma_f32_16x16x32_fp8_fp8 v[88:91], a[162:163], v[186:187], v[88:91]// 00000000855C: D3F30058 0D6375A2
	v_mfma_f32_16x16x32_fp8_fp8 v[88:91], a[164:165], v[188:189], v[88:91]// 000000008564: D3F30058 0D6379A4
	ds_read_b128 v[232:235], v2 offset:9344                    // 00000000856C: D9FE2480 E8000002
	v_mfma_f32_16x16x32_fp8_fp8 v[88:91], a[166:167], v[190:191], v[88:91]// 000000008574: D3F30058 0D637DA6
	v_mfma_f32_16x16x32_fp8_fp8 v[88:91], a[168:169], v[192:193], v[88:91]// 00000000857C: D3F30058 0D6381A8
	buffer_load_dwordx4 a[52:55], v37, s[24:27], 0 offen offset:1024// 000000008584: E05C1400 80863425
	v_mfma_f32_16x16x32_fp8_fp8 v[88:91], a[170:171], v[194:195], v[88:91]// 00000000858C: D3F30058 0D6385AA
	v_mfma_f32_16x16x32_fp8_fp8 v[88:91], a[172:173], v[196:197], v[88:91]// 000000008594: D3F30058 0D6389AC
	ds_read_b128 v[236:239], v2 offset:9408                    // 00000000859C: D9FE24C0 EC000002
	v_mfma_f32_16x16x32_fp8_fp8 v[88:91], a[174:175], v[198:199], v[88:91]// 0000000085A4: D3F30058 0D638DAE
	v_mfma_f32_16x16x32_fp8_fp8 v[92:95], a[160:161], v[200:201], v[92:95]// 0000000085AC: D3F3005C 0D7391A0
	buffer_load_dwordx4 a[56:59], v37, s[24:27], 0 offen offset:2048// 0000000085B4: E05C1800 80863825
	v_mfma_f32_16x16x32_fp8_fp8 v[92:95], a[162:163], v[202:203], v[92:95]// 0000000085BC: D3F3005C 0D7395A2
	v_mfma_f32_16x16x32_fp8_fp8 v[92:95], a[164:165], v[204:205], v[92:95]// 0000000085C4: D3F3005C 0D7399A4
	ds_read_b128 v[240:243], v2 offset:9472                    // 0000000085CC: D9FE2500 F0000002
	v_mfma_f32_16x16x32_fp8_fp8 v[92:95], a[166:167], v[206:207], v[92:95]// 0000000085D4: D3F3005C 0D739DA6
	v_mfma_f32_16x16x32_fp8_fp8 v[92:95], a[168:169], v[208:209], v[92:95]// 0000000085DC: D3F3005C 0D73A1A8
	buffer_load_dwordx4 a[60:63], v37, s[24:27], 0 offen offset:3072// 0000000085E4: E05C1C00 80863C25
	v_mfma_f32_16x16x32_fp8_fp8 v[92:95], a[170:171], v[210:211], v[92:95]// 0000000085EC: D3F3005C 0D73A5AA
	v_mfma_f32_16x16x32_fp8_fp8 v[92:95], a[172:173], v[212:213], v[92:95]// 0000000085F4: D3F3005C 0D73A9AC
	ds_read_b128 v[244:247], v2 offset:9536                    // 0000000085FC: D9FE2540 F4000002
	v_mfma_f32_16x16x32_fp8_fp8 v[92:95], a[174:175], v[214:215], v[92:95]// 000000008604: D3F3005C 0D73ADAE
	s_waitcnt vmcnt(24)                                        // 00000000860C: BF8C4F78
	v_mfma_f32_16x16x32_fp8_fp8 v[96:99], a[176:177], v[184:185], v[96:99]// 000000008610: D3F30060 0D8371B0
	buffer_load_dwordx4 a[64:67], v38, s[24:27], 0 offen       // 000000008618: E05C1000 80864026
	v_mfma_f32_16x16x32_fp8_fp8 v[96:99], a[178:179], v[186:187], v[96:99]// 000000008620: D3F30060 0D8375B2
	v_mfma_f32_16x16x32_fp8_fp8 v[96:99], a[180:181], v[188:189], v[96:99]// 000000008628: D3F30060 0D8379B4
	v_mfma_f32_16x16x32_fp8_fp8 v[96:99], a[182:183], v[190:191], v[96:99]// 000000008630: D3F30060 0D837DB6
	v_mfma_f32_16x16x32_fp8_fp8 v[96:99], a[184:185], v[192:193], v[96:99]// 000000008638: D3F30060 0D8381B8
	buffer_load_dwordx4 a[68:71], v38, s[24:27], 0 offen offset:1024// 000000008640: E05C1400 80864426
	v_mfma_f32_16x16x32_fp8_fp8 v[96:99], a[186:187], v[194:195], v[96:99]// 000000008648: D3F30060 0D8385BA
	v_mfma_f32_16x16x32_fp8_fp8 v[96:99], a[188:189], v[196:197], v[96:99]// 000000008650: D3F30060 0D8389BC
	v_mfma_f32_16x16x32_fp8_fp8 v[96:99], a[190:191], v[198:199], v[96:99]// 000000008658: D3F30060 0D838DBE
	v_mfma_f32_16x16x32_fp8_fp8 v[100:103], a[176:177], v[200:201], v[100:103]// 000000008660: D3F30064 0D9391B0
	buffer_load_dwordx4 a[72:75], v38, s[24:27], 0 offen offset:2048// 000000008668: E05C1800 80864826
	v_mfma_f32_16x16x32_fp8_fp8 v[100:103], a[178:179], v[202:203], v[100:103]// 000000008670: D3F30064 0D9395B2
	v_mfma_f32_16x16x32_fp8_fp8 v[100:103], a[180:181], v[204:205], v[100:103]// 000000008678: D3F30064 0D9399B4
	v_mfma_f32_16x16x32_fp8_fp8 v[100:103], a[182:183], v[206:207], v[100:103]// 000000008680: D3F30064 0D939DB6
	v_mfma_f32_16x16x32_fp8_fp8 v[100:103], a[184:185], v[208:209], v[100:103]// 000000008688: D3F30064 0D93A1B8
	buffer_load_dwordx4 a[76:79], v38, s[24:27], 0 offen offset:3072// 000000008690: E05C1C00 80864C26
	v_mfma_f32_16x16x32_fp8_fp8 v[100:103], a[186:187], v[210:211], v[100:103]// 000000008698: D3F30064 0D93A5BA
	v_mfma_f32_16x16x32_fp8_fp8 v[100:103], a[188:189], v[212:213], v[100:103]// 0000000086A0: D3F30064 0D93A9BC
	v_mfma_f32_16x16x32_fp8_fp8 v[100:103], a[190:191], v[214:215], v[100:103]// 0000000086A8: D3F30064 0D93ADBE
	s_waitcnt vmcnt(24)                                        // 0000000086B0: BF8C4F78
	v_mfma_f32_16x16x32_fp8_fp8 v[104:107], a[192:193], v[184:185], v[104:107]// 0000000086B4: D3F30068 0DA371C0
	buffer_load_dwordx4 a[80:83], v39, s[24:27], 0 offen       // 0000000086BC: E05C1000 80865027
	v_mfma_f32_16x16x32_fp8_fp8 v[104:107], a[194:195], v[186:187], v[104:107]// 0000000086C4: D3F30068 0DA375C2
	v_mfma_f32_16x16x32_fp8_fp8 v[104:107], a[196:197], v[188:189], v[104:107]// 0000000086CC: D3F30068 0DA379C4
	v_mfma_f32_16x16x32_fp8_fp8 v[104:107], a[198:199], v[190:191], v[104:107]// 0000000086D4: D3F30068 0DA37DC6
	v_mfma_f32_16x16x32_fp8_fp8 v[104:107], a[200:201], v[192:193], v[104:107]// 0000000086DC: D3F30068 0DA381C8
	buffer_load_dwordx4 a[84:87], v39, s[24:27], 0 offen offset:1024// 0000000086E4: E05C1400 80865427
	v_mfma_f32_16x16x32_fp8_fp8 v[104:107], a[202:203], v[194:195], v[104:107]// 0000000086EC: D3F30068 0DA385CA
	v_mfma_f32_16x16x32_fp8_fp8 v[104:107], a[204:205], v[196:197], v[104:107]// 0000000086F4: D3F30068 0DA389CC
	v_mfma_f32_16x16x32_fp8_fp8 v[104:107], a[206:207], v[198:199], v[104:107]// 0000000086FC: D3F30068 0DA38DCE
	v_mfma_f32_16x16x32_fp8_fp8 v[108:111], a[192:193], v[200:201], v[108:111]// 000000008704: D3F3006C 0DB391C0
	buffer_load_dwordx4 a[88:91], v39, s[24:27], 0 offen offset:2048// 00000000870C: E05C1800 80865827
	v_mfma_f32_16x16x32_fp8_fp8 v[108:111], a[194:195], v[202:203], v[108:111]// 000000008714: D3F3006C 0DB395C2
	v_mfma_f32_16x16x32_fp8_fp8 v[108:111], a[196:197], v[204:205], v[108:111]// 00000000871C: D3F3006C 0DB399C4
	v_mfma_f32_16x16x32_fp8_fp8 v[108:111], a[198:199], v[206:207], v[108:111]// 000000008724: D3F3006C 0DB39DC6
	v_mfma_f32_16x16x32_fp8_fp8 v[108:111], a[200:201], v[208:209], v[108:111]// 00000000872C: D3F3006C 0DB3A1C8
	buffer_load_dwordx4 a[92:95], v39, s[24:27], 0 offen offset:3072// 000000008734: E05C1C00 80865C27
	v_mfma_f32_16x16x32_fp8_fp8 v[108:111], a[202:203], v[210:211], v[108:111]// 00000000873C: D3F3006C 0DB3A5CA
	v_mfma_f32_16x16x32_fp8_fp8 v[108:111], a[204:205], v[212:213], v[108:111]// 000000008744: D3F3006C 0DB3A9CC
	v_mfma_f32_16x16x32_fp8_fp8 v[108:111], a[206:207], v[214:215], v[108:111]// 00000000874C: D3F3006C 0DB3ADCE
	s_waitcnt vmcnt(24)                                        // 000000008754: BF8C4F78
	v_mfma_f32_16x16x32_fp8_fp8 v[112:115], a[208:209], v[184:185], v[112:115]// 000000008758: D3F30070 0DC371D0
	buffer_load_dwordx4 a[96:99], v40, s[24:27], 0 offen       // 000000008760: E05C1000 80866028
	v_mfma_f32_16x16x32_fp8_fp8 v[112:115], a[210:211], v[186:187], v[112:115]// 000000008768: D3F30070 0DC375D2
	v_mfma_f32_16x16x32_fp8_fp8 v[112:115], a[212:213], v[188:189], v[112:115]// 000000008770: D3F30070 0DC379D4
	v_mfma_f32_16x16x32_fp8_fp8 v[112:115], a[214:215], v[190:191], v[112:115]// 000000008778: D3F30070 0DC37DD6
	v_mfma_f32_16x16x32_fp8_fp8 v[112:115], a[216:217], v[192:193], v[112:115]// 000000008780: D3F30070 0DC381D8
	buffer_load_dwordx4 a[100:103], v40, s[24:27], 0 offen offset:1024// 000000008788: E05C1400 80866428
	v_mfma_f32_16x16x32_fp8_fp8 v[112:115], a[218:219], v[194:195], v[112:115]// 000000008790: D3F30070 0DC385DA
	v_mfma_f32_16x16x32_fp8_fp8 v[112:115], a[220:221], v[196:197], v[112:115]// 000000008798: D3F30070 0DC389DC
	v_mfma_f32_16x16x32_fp8_fp8 v[112:115], a[222:223], v[198:199], v[112:115]// 0000000087A0: D3F30070 0DC38DDE
	v_mfma_f32_16x16x32_fp8_fp8 v[116:119], a[208:209], v[200:201], v[116:119]// 0000000087A8: D3F30074 0DD391D0
	buffer_load_dwordx4 a[104:107], v40, s[24:27], 0 offen offset:2048// 0000000087B0: E05C1800 80866828
	v_mfma_f32_16x16x32_fp8_fp8 v[116:119], a[210:211], v[202:203], v[116:119]// 0000000087B8: D3F30074 0DD395D2
	v_mfma_f32_16x16x32_fp8_fp8 v[116:119], a[212:213], v[204:205], v[116:119]// 0000000087C0: D3F30074 0DD399D4
	v_mfma_f32_16x16x32_fp8_fp8 v[116:119], a[214:215], v[206:207], v[116:119]// 0000000087C8: D3F30074 0DD39DD6
	v_mfma_f32_16x16x32_fp8_fp8 v[116:119], a[216:217], v[208:209], v[116:119]// 0000000087D0: D3F30074 0DD3A1D8
	buffer_load_dwordx4 a[108:111], v40, s[24:27], 0 offen offset:3072// 0000000087D8: E05C1C00 80866C28
	v_mfma_f32_16x16x32_fp8_fp8 v[116:119], a[218:219], v[210:211], v[116:119]// 0000000087E0: D3F30074 0DD3A5DA
	v_mfma_f32_16x16x32_fp8_fp8 v[116:119], a[220:221], v[212:213], v[116:119]// 0000000087E8: D3F30074 0DD3A9DC
	v_mfma_f32_16x16x32_fp8_fp8 v[116:119], a[222:223], v[214:215], v[116:119]// 0000000087F0: D3F30074 0DD3ADDE
	s_add_u32 s60, 0x200, s80                                  // 0000000087F8: 803C50FF 00000200
	s_cmp_lt_u32 s60, s81                                      // 000000008800: BF0A513C
	s_cselect_b32 s57, s57, 0                                  // 000000008804: 85398039
	s_add_u32 s60, 0x200, s80                                  // 000000008808: 803C50FF 00000200
	s_cmp_lt_u32 s60, s81                                      // 000000008810: BF0A513C
	s_cselect_b32 s58, s58, 0                                  // 000000008814: 853A803A
	s_add_u32 s20, s57, s20                                    // 000000008818: 80141439
	s_addc_u32 s21, 0, s21                                     // 00000000881C: 82151580
	s_add_u32 s24, s58, s24                                    // 000000008820: 8018183A
	s_addc_u32 s25, 0, s25                                     // 000000008824: 82191980
	s_add_u32 s92, s90, s92                                    // 000000008828: 805C5C5A
	s_addc_u32 s93, 0, s93                                     // 00000000882C: 825D5D80
	s_addk_i32 s80, 0x100                                      // 000000008830: B7500100
	s_cmp_lt_i32 s80, s81                                      // 000000008834: BF045150
	s_cbranch_scc0 label_190E                                  // 000000008838: BF84027F
	s_waitcnt vmcnt(20) lgkmcnt(0)                             // 00000000883C: BF8C4074
	s_barrier                                                  // 000000008840: BF8A0000
	v_mfma_f32_16x16x32_fp8_fp8 v[128:131], a[0:1], v[216:217], v[128:131]// 000000008844: D3F30080 0E03B100
	buffer_load_dwordx4 a[112:115], v34, s[92:95], 0 offen     // 00000000884C: E05C1000 80977022
	v_mfma_f32_16x16x32_fp8_fp8 v[128:131], a[2:3], v[218:219], v[128:131]// 000000008854: D3F30080 0E03B502
	v_mfma_f32_16x16x32_fp8_fp8 v[128:131], a[4:5], v[220:221], v[128:131]// 00000000885C: D3F30080 0E03B904
	buffer_load_dword v26, s[20:23], 0 offen lds               // 000000008864: E0511000 8005001A
	s_add_u32 m0, 0x100, s50                                   // 00000000886C: 807C32FF 00000100
	v_mfma_f32_16x16x32_fp8_fp8 v[128:131], a[6:7], v[222:223], v[128:131]// 000000008874: D3F30080 0E03BD06
	v_mfma_f32_16x16x32_fp8_fp8 v[128:131], a[8:9], v[224:225], v[128:131]// 00000000887C: D3F30080 0E03C108
	buffer_load_dwordx4 a[116:119], v34, s[92:95], 0 offen offset:1024// 000000008884: E05C1400 80977422
	v_mfma_f32_16x16x32_fp8_fp8 v[128:131], a[10:11], v[226:227], v[128:131]// 00000000888C: D3F30080 0E03C50A
	v_mfma_f32_16x16x32_fp8_fp8 v[128:131], a[12:13], v[228:229], v[128:131]// 000000008894: D3F30080 0E03C90C
	buffer_load_dword v27, s[20:23], 0 offen lds               // 00000000889C: E0511000 8005001B
	s_add_u32 m0, 0x200, s50                                   // 0000000088A4: 807C32FF 00000200
	v_mfma_f32_16x16x32_fp8_fp8 v[128:131], a[14:15], v[230:231], v[128:131]// 0000000088AC: D3F30080 0E03CD0E
	v_mfma_f32_16x16x32_fp8_fp8 v[132:135], a[0:1], v[232:233], v[132:135]// 0000000088B4: D3F30084 0E13D100
	buffer_load_dwordx4 a[120:123], v34, s[92:95], 0 offen offset:2048// 0000000088BC: E05C1800 80977822
	v_mfma_f32_16x16x32_fp8_fp8 v[132:135], a[2:3], v[234:235], v[132:135]// 0000000088C4: D3F30084 0E13D502
	v_mfma_f32_16x16x32_fp8_fp8 v[132:135], a[4:5], v[236:237], v[132:135]// 0000000088CC: D3F30084 0E13D904
	buffer_load_dword v28, s[20:23], 0 offen lds               // 0000000088D4: E0511000 8005001C
	s_add_u32 m0, 0x300, s50                                   // 0000000088DC: 807C32FF 00000300
	v_mfma_f32_16x16x32_fp8_fp8 v[132:135], a[6:7], v[238:239], v[132:135]// 0000000088E4: D3F30084 0E13DD06
	v_mfma_f32_16x16x32_fp8_fp8 v[132:135], a[8:9], v[240:241], v[132:135]// 0000000088EC: D3F30084 0E13E108
	buffer_load_dwordx4 a[124:127], v34, s[92:95], 0 offen offset:3072// 0000000088F4: E05C1C00 80977C22
	v_mfma_f32_16x16x32_fp8_fp8 v[132:135], a[10:11], v[242:243], v[132:135]// 0000000088FC: D3F30084 0E13E50A
	v_mfma_f32_16x16x32_fp8_fp8 v[132:135], a[12:13], v[244:245], v[132:135]// 000000008904: D3F30084 0E13E90C
	buffer_load_dword v29, s[20:23], 0 offen lds               // 00000000890C: E0511000 8005001D
	s_add_u32 m0, 0x400, s50                                   // 000000008914: 807C32FF 00000400
	v_mfma_f32_16x16x32_fp8_fp8 v[132:135], a[14:15], v[246:247], v[132:135]// 00000000891C: D3F30084 0E13ED0E
	v_mfma_f32_16x16x32_fp8_fp8 v[136:139], a[16:17], v[216:217], v[136:139]// 000000008924: D3F30088 0E23B110
	buffer_load_dwordx4 a[128:131], v35, s[92:95], 0 offen     // 00000000892C: E05C1000 80978023
	v_mfma_f32_16x16x32_fp8_fp8 v[136:139], a[18:19], v[218:219], v[136:139]// 000000008934: D3F30088 0E23B512
	v_mfma_f32_16x16x32_fp8_fp8 v[136:139], a[20:21], v[220:221], v[136:139]// 00000000893C: D3F30088 0E23B914
	buffer_load_dword v30, s[20:23], 0 offen lds               // 000000008944: E0511000 8005001E
	s_add_u32 m0, 0x500, s50                                   // 00000000894C: 807C32FF 00000500
	v_mfma_f32_16x16x32_fp8_fp8 v[136:139], a[22:23], v[222:223], v[136:139]// 000000008954: D3F30088 0E23BD16
	v_mfma_f32_16x16x32_fp8_fp8 v[136:139], a[24:25], v[224:225], v[136:139]// 00000000895C: D3F30088 0E23C118
	buffer_load_dwordx4 a[132:135], v35, s[92:95], 0 offen offset:1024// 000000008964: E05C1400 80978423
	v_mfma_f32_16x16x32_fp8_fp8 v[136:139], a[26:27], v[226:227], v[136:139]// 00000000896C: D3F30088 0E23C51A
	v_mfma_f32_16x16x32_fp8_fp8 v[136:139], a[28:29], v[228:229], v[136:139]// 000000008974: D3F30088 0E23C91C
	buffer_load_dword v31, s[20:23], 0 offen lds               // 00000000897C: E0511000 8005001F
	s_add_u32 m0, 0x600, s50                                   // 000000008984: 807C32FF 00000600
	v_mfma_f32_16x16x32_fp8_fp8 v[136:139], a[30:31], v[230:231], v[136:139]// 00000000898C: D3F30088 0E23CD1E
	v_mfma_f32_16x16x32_fp8_fp8 v[140:143], a[16:17], v[232:233], v[140:143]// 000000008994: D3F3008C 0E33D110
	buffer_load_dwordx4 a[136:139], v35, s[92:95], 0 offen offset:2048// 00000000899C: E05C1800 80978823
	v_mfma_f32_16x16x32_fp8_fp8 v[140:143], a[18:19], v[234:235], v[140:143]// 0000000089A4: D3F3008C 0E33D512
	v_mfma_f32_16x16x32_fp8_fp8 v[140:143], a[20:21], v[236:237], v[140:143]// 0000000089AC: D3F3008C 0E33D914
	buffer_load_dword v32, s[20:23], 0 offen lds               // 0000000089B4: E0511000 80050020
	s_add_u32 m0, 0x700, s50                                   // 0000000089BC: 807C32FF 00000700
	v_mfma_f32_16x16x32_fp8_fp8 v[140:143], a[22:23], v[238:239], v[140:143]// 0000000089C4: D3F3008C 0E33DD16
	v_mfma_f32_16x16x32_fp8_fp8 v[140:143], a[24:25], v[240:241], v[140:143]// 0000000089CC: D3F3008C 0E33E118
	buffer_load_dwordx4 a[140:143], v35, s[92:95], 0 offen offset:3072// 0000000089D4: E05C1C00 80978C23
	v_mfma_f32_16x16x32_fp8_fp8 v[140:143], a[26:27], v[242:243], v[140:143]// 0000000089DC: D3F3008C 0E33E51A
	v_mfma_f32_16x16x32_fp8_fp8 v[140:143], a[28:29], v[244:245], v[140:143]// 0000000089E4: D3F3008C 0E33E91C
	buffer_load_dword v33, s[20:23], 0 offen lds               // 0000000089EC: E0511000 80050021
	s_add_u32 m0, 0, s51                                       // 0000000089F4: 807C3380
	v_mfma_f32_16x16x32_fp8_fp8 v[140:143], a[30:31], v[246:247], v[140:143]// 0000000089F8: D3F3008C 0E33ED1E
	s_waitcnt vmcnt(32)                                        // 000000008A00: BF8C8F70
	v_mfma_f32_16x16x32_fp8_fp8 v[144:147], a[32:33], v[216:217], v[144:147]// 000000008A04: D3F30090 0E43B120
	buffer_load_dwordx4 a[144:147], v36, s[92:95], 0 offen     // 000000008A0C: E05C1000 80979024
	v_mfma_f32_16x16x32_fp8_fp8 v[144:147], a[34:35], v[218:219], v[144:147]// 000000008A14: D3F30090 0E43B522
	v_mfma_f32_16x16x32_fp8_fp8 v[144:147], a[36:37], v[220:221], v[144:147]// 000000008A1C: D3F30090 0E43B924
	v_mfma_f32_16x16x32_fp8_fp8 v[144:147], a[38:39], v[222:223], v[144:147]// 000000008A24: D3F30090 0E43BD26
	v_mfma_f32_16x16x32_fp8_fp8 v[144:147], a[40:41], v[224:225], v[144:147]// 000000008A2C: D3F30090 0E43C128
	buffer_load_dwordx4 a[148:151], v36, s[92:95], 0 offen offset:1024// 000000008A34: E05C1400 80979424
	v_mfma_f32_16x16x32_fp8_fp8 v[144:147], a[42:43], v[226:227], v[144:147]// 000000008A3C: D3F30090 0E43C52A
	v_mfma_f32_16x16x32_fp8_fp8 v[144:147], a[44:45], v[228:229], v[144:147]// 000000008A44: D3F30090 0E43C92C
	v_mfma_f32_16x16x32_fp8_fp8 v[144:147], a[46:47], v[230:231], v[144:147]// 000000008A4C: D3F30090 0E43CD2E
	v_mfma_f32_16x16x32_fp8_fp8 v[148:151], a[32:33], v[232:233], v[148:151]// 000000008A54: D3F30094 0E53D120
	buffer_load_dwordx4 a[152:155], v36, s[92:95], 0 offen offset:2048// 000000008A5C: E05C1800 80979824
	v_mfma_f32_16x16x32_fp8_fp8 v[148:151], a[34:35], v[234:235], v[148:151]// 000000008A64: D3F30094 0E53D522
	v_mfma_f32_16x16x32_fp8_fp8 v[148:151], a[36:37], v[236:237], v[148:151]// 000000008A6C: D3F30094 0E53D924
	v_mfma_f32_16x16x32_fp8_fp8 v[148:151], a[38:39], v[238:239], v[148:151]// 000000008A74: D3F30094 0E53DD26
	v_mfma_f32_16x16x32_fp8_fp8 v[148:151], a[40:41], v[240:241], v[148:151]// 000000008A7C: D3F30094 0E53E128
	buffer_load_dwordx4 a[156:159], v36, s[92:95], 0 offen offset:3072// 000000008A84: E05C1C00 80979C24
	v_mfma_f32_16x16x32_fp8_fp8 v[148:151], a[42:43], v[242:243], v[148:151]// 000000008A8C: D3F30094 0E53E52A
	v_mfma_f32_16x16x32_fp8_fp8 v[148:151], a[44:45], v[244:245], v[148:151]// 000000008A94: D3F30094 0E53E92C
	v_mfma_f32_16x16x32_fp8_fp8 v[148:151], a[46:47], v[246:247], v[148:151]// 000000008A9C: D3F30094 0E53ED2E
	s_waitcnt vmcnt(32)                                        // 000000008AA4: BF8C8F70
	v_mfma_f32_16x16x32_fp8_fp8 v[152:155], a[48:49], v[216:217], v[152:155]// 000000008AA8: D3F30098 0E63B130
	buffer_load_dwordx4 a[160:163], v37, s[92:95], 0 offen     // 000000008AB0: E05C1000 8097A025
	v_mfma_f32_16x16x32_fp8_fp8 v[152:155], a[50:51], v[218:219], v[152:155]// 000000008AB8: D3F30098 0E63B532
	v_mfma_f32_16x16x32_fp8_fp8 v[152:155], a[52:53], v[220:221], v[152:155]// 000000008AC0: D3F30098 0E63B934
	v_mfma_f32_16x16x32_fp8_fp8 v[152:155], a[54:55], v[222:223], v[152:155]// 000000008AC8: D3F30098 0E63BD36
	v_mfma_f32_16x16x32_fp8_fp8 v[152:155], a[56:57], v[224:225], v[152:155]// 000000008AD0: D3F30098 0E63C138
	buffer_load_dwordx4 a[164:167], v37, s[92:95], 0 offen offset:1024// 000000008AD8: E05C1400 8097A425
	v_mfma_f32_16x16x32_fp8_fp8 v[152:155], a[58:59], v[226:227], v[152:155]// 000000008AE0: D3F30098 0E63C53A
	v_mfma_f32_16x16x32_fp8_fp8 v[152:155], a[60:61], v[228:229], v[152:155]// 000000008AE8: D3F30098 0E63C93C
	v_mfma_f32_16x16x32_fp8_fp8 v[152:155], a[62:63], v[230:231], v[152:155]// 000000008AF0: D3F30098 0E63CD3E
	v_mfma_f32_16x16x32_fp8_fp8 v[156:159], a[48:49], v[232:233], v[156:159]// 000000008AF8: D3F3009C 0E73D130
	buffer_load_dwordx4 a[168:171], v37, s[92:95], 0 offen offset:2048// 000000008B00: E05C1800 8097A825
	v_mfma_f32_16x16x32_fp8_fp8 v[156:159], a[50:51], v[234:235], v[156:159]// 000000008B08: D3F3009C 0E73D532
	v_mfma_f32_16x16x32_fp8_fp8 v[156:159], a[52:53], v[236:237], v[156:159]// 000000008B10: D3F3009C 0E73D934
	v_mfma_f32_16x16x32_fp8_fp8 v[156:159], a[54:55], v[238:239], v[156:159]// 000000008B18: D3F3009C 0E73DD36
	v_mfma_f32_16x16x32_fp8_fp8 v[156:159], a[56:57], v[240:241], v[156:159]// 000000008B20: D3F3009C 0E73E138
	buffer_load_dwordx4 a[172:175], v37, s[92:95], 0 offen offset:3072// 000000008B28: E05C1C00 8097AC25
	v_mfma_f32_16x16x32_fp8_fp8 v[156:159], a[58:59], v[242:243], v[156:159]// 000000008B30: D3F3009C 0E73E53A
	v_mfma_f32_16x16x32_fp8_fp8 v[156:159], a[60:61], v[244:245], v[156:159]// 000000008B38: D3F3009C 0E73E93C
	v_mfma_f32_16x16x32_fp8_fp8 v[156:159], a[62:63], v[246:247], v[156:159]// 000000008B40: D3F3009C 0E73ED3E
	s_waitcnt vmcnt(32)                                        // 000000008B48: BF8C8F70
	v_mfma_f32_16x16x32_fp8_fp8 v[160:163], a[64:65], v[216:217], v[160:163]// 000000008B4C: D3F300A0 0E83B140
	buffer_load_dwordx4 a[176:179], v38, s[92:95], 0 offen     // 000000008B54: E05C1000 8097B026
	v_mfma_f32_16x16x32_fp8_fp8 v[160:163], a[66:67], v[218:219], v[160:163]// 000000008B5C: D3F300A0 0E83B542
	v_mfma_f32_16x16x32_fp8_fp8 v[160:163], a[68:69], v[220:221], v[160:163]// 000000008B64: D3F300A0 0E83B944
	v_mfma_f32_16x16x32_fp8_fp8 v[160:163], a[70:71], v[222:223], v[160:163]// 000000008B6C: D3F300A0 0E83BD46
	v_mfma_f32_16x16x32_fp8_fp8 v[160:163], a[72:73], v[224:225], v[160:163]// 000000008B74: D3F300A0 0E83C148
	buffer_load_dwordx4 a[180:183], v38, s[92:95], 0 offen offset:1024// 000000008B7C: E05C1400 8097B426
	v_mfma_f32_16x16x32_fp8_fp8 v[160:163], a[74:75], v[226:227], v[160:163]// 000000008B84: D3F300A0 0E83C54A
	v_mfma_f32_16x16x32_fp8_fp8 v[160:163], a[76:77], v[228:229], v[160:163]// 000000008B8C: D3F300A0 0E83C94C
	v_mfma_f32_16x16x32_fp8_fp8 v[160:163], a[78:79], v[230:231], v[160:163]// 000000008B94: D3F300A0 0E83CD4E
	v_mfma_f32_16x16x32_fp8_fp8 v[164:167], a[64:65], v[232:233], v[164:167]// 000000008B9C: D3F300A4 0E93D140
	buffer_load_dwordx4 a[184:187], v38, s[92:95], 0 offen offset:2048// 000000008BA4: E05C1800 8097B826
	v_mfma_f32_16x16x32_fp8_fp8 v[164:167], a[66:67], v[234:235], v[164:167]// 000000008BAC: D3F300A4 0E93D542
	v_mfma_f32_16x16x32_fp8_fp8 v[164:167], a[68:69], v[236:237], v[164:167]// 000000008BB4: D3F300A4 0E93D944
	v_mfma_f32_16x16x32_fp8_fp8 v[164:167], a[70:71], v[238:239], v[164:167]// 000000008BBC: D3F300A4 0E93DD46
	v_mfma_f32_16x16x32_fp8_fp8 v[164:167], a[72:73], v[240:241], v[164:167]// 000000008BC4: D3F300A4 0E93E148
	buffer_load_dwordx4 a[188:191], v38, s[92:95], 0 offen offset:3072// 000000008BCC: E05C1C00 8097BC26
	v_mfma_f32_16x16x32_fp8_fp8 v[164:167], a[74:75], v[242:243], v[164:167]// 000000008BD4: D3F300A4 0E93E54A
	v_mfma_f32_16x16x32_fp8_fp8 v[164:167], a[76:77], v[244:245], v[164:167]// 000000008BDC: D3F300A4 0E93E94C
	v_mfma_f32_16x16x32_fp8_fp8 v[164:167], a[78:79], v[246:247], v[164:167]// 000000008BE4: D3F300A4 0E93ED4E
	s_waitcnt vmcnt(32)                                        // 000000008BEC: BF8C8F70
	v_mfma_f32_16x16x32_fp8_fp8 v[168:171], a[80:81], v[216:217], v[168:171]// 000000008BF0: D3F300A8 0EA3B150
	buffer_load_dwordx4 a[192:195], v39, s[92:95], 0 offen     // 000000008BF8: E05C1000 8097C027
	v_mfma_f32_16x16x32_fp8_fp8 v[168:171], a[82:83], v[218:219], v[168:171]// 000000008C00: D3F300A8 0EA3B552
	v_mfma_f32_16x16x32_fp8_fp8 v[168:171], a[84:85], v[220:221], v[168:171]// 000000008C08: D3F300A8 0EA3B954
	v_mfma_f32_16x16x32_fp8_fp8 v[168:171], a[86:87], v[222:223], v[168:171]// 000000008C10: D3F300A8 0EA3BD56
	v_mfma_f32_16x16x32_fp8_fp8 v[168:171], a[88:89], v[224:225], v[168:171]// 000000008C18: D3F300A8 0EA3C158
	buffer_load_dwordx4 a[196:199], v39, s[92:95], 0 offen offset:1024// 000000008C20: E05C1400 8097C427
	v_mfma_f32_16x16x32_fp8_fp8 v[168:171], a[90:91], v[226:227], v[168:171]// 000000008C28: D3F300A8 0EA3C55A
	v_mfma_f32_16x16x32_fp8_fp8 v[168:171], a[92:93], v[228:229], v[168:171]// 000000008C30: D3F300A8 0EA3C95C
	v_mfma_f32_16x16x32_fp8_fp8 v[168:171], a[94:95], v[230:231], v[168:171]// 000000008C38: D3F300A8 0EA3CD5E
	v_mfma_f32_16x16x32_fp8_fp8 v[172:175], a[80:81], v[232:233], v[172:175]// 000000008C40: D3F300AC 0EB3D150
	buffer_load_dwordx4 a[200:203], v39, s[92:95], 0 offen offset:2048// 000000008C48: E05C1800 8097C827
	v_mfma_f32_16x16x32_fp8_fp8 v[172:175], a[82:83], v[234:235], v[172:175]// 000000008C50: D3F300AC 0EB3D552
	v_mfma_f32_16x16x32_fp8_fp8 v[172:175], a[84:85], v[236:237], v[172:175]// 000000008C58: D3F300AC 0EB3D954
	v_mfma_f32_16x16x32_fp8_fp8 v[172:175], a[86:87], v[238:239], v[172:175]// 000000008C60: D3F300AC 0EB3DD56
	v_mfma_f32_16x16x32_fp8_fp8 v[172:175], a[88:89], v[240:241], v[172:175]// 000000008C68: D3F300AC 0EB3E158
	buffer_load_dwordx4 a[204:207], v39, s[92:95], 0 offen offset:3072// 000000008C70: E05C1C00 8097CC27
	v_mfma_f32_16x16x32_fp8_fp8 v[172:175], a[90:91], v[242:243], v[172:175]// 000000008C78: D3F300AC 0EB3E55A
	v_mfma_f32_16x16x32_fp8_fp8 v[172:175], a[92:93], v[244:245], v[172:175]// 000000008C80: D3F300AC 0EB3E95C
	v_mfma_f32_16x16x32_fp8_fp8 v[172:175], a[94:95], v[246:247], v[172:175]// 000000008C88: D3F300AC 0EB3ED5E
	s_waitcnt vmcnt(32)                                        // 000000008C90: BF8C8F70
	v_mfma_f32_16x16x32_fp8_fp8 v[176:179], a[96:97], v[216:217], v[176:179]// 000000008C94: D3F300B0 0EC3B160
	buffer_load_dwordx4 a[208:211], v40, s[92:95], 0 offen     // 000000008C9C: E05C1000 8097D028
	v_mfma_f32_16x16x32_fp8_fp8 v[176:179], a[98:99], v[218:219], v[176:179]// 000000008CA4: D3F300B0 0EC3B562
	v_mfma_f32_16x16x32_fp8_fp8 v[176:179], a[100:101], v[220:221], v[176:179]// 000000008CAC: D3F300B0 0EC3B964
	v_mfma_f32_16x16x32_fp8_fp8 v[176:179], a[102:103], v[222:223], v[176:179]// 000000008CB4: D3F300B0 0EC3BD66
	v_mfma_f32_16x16x32_fp8_fp8 v[176:179], a[104:105], v[224:225], v[176:179]// 000000008CBC: D3F300B0 0EC3C168
	buffer_load_dwordx4 a[212:215], v40, s[92:95], 0 offen offset:1024// 000000008CC4: E05C1400 8097D428
	v_mfma_f32_16x16x32_fp8_fp8 v[176:179], a[106:107], v[226:227], v[176:179]// 000000008CCC: D3F300B0 0EC3C56A
	v_mfma_f32_16x16x32_fp8_fp8 v[176:179], a[108:109], v[228:229], v[176:179]// 000000008CD4: D3F300B0 0EC3C96C
	v_mfma_f32_16x16x32_fp8_fp8 v[176:179], a[110:111], v[230:231], v[176:179]// 000000008CDC: D3F300B0 0EC3CD6E
	v_mfma_f32_16x16x32_fp8_fp8 v[180:183], a[96:97], v[232:233], v[180:183]// 000000008CE4: D3F300B4 0ED3D160
	buffer_load_dwordx4 a[216:219], v40, s[92:95], 0 offen offset:2048// 000000008CEC: E05C1800 8097D828
	v_mfma_f32_16x16x32_fp8_fp8 v[180:183], a[98:99], v[234:235], v[180:183]// 000000008CF4: D3F300B4 0ED3D562
	v_mfma_f32_16x16x32_fp8_fp8 v[180:183], a[100:101], v[236:237], v[180:183]// 000000008CFC: D3F300B4 0ED3D964
	v_mfma_f32_16x16x32_fp8_fp8 v[180:183], a[102:103], v[238:239], v[180:183]// 000000008D04: D3F300B4 0ED3DD66
	v_mfma_f32_16x16x32_fp8_fp8 v[180:183], a[104:105], v[240:241], v[180:183]// 000000008D0C: D3F300B4 0ED3E168
	buffer_load_dwordx4 a[220:223], v40, s[92:95], 0 offen offset:3072// 000000008D14: E05C1C00 8097DC28
	v_mfma_f32_16x16x32_fp8_fp8 v[180:183], a[106:107], v[242:243], v[180:183]// 000000008D1C: D3F300B4 0ED3E56A
	v_mfma_f32_16x16x32_fp8_fp8 v[180:183], a[108:109], v[244:245], v[180:183]// 000000008D24: D3F300B4 0ED3E96C
	v_mfma_f32_16x16x32_fp8_fp8 v[180:183], a[110:111], v[246:247], v[180:183]// 000000008D2C: D3F300B4 0ED3ED6E
	s_waitcnt vmcnt(20)                                        // 000000008D34: BF8C4F74
	s_barrier                                                  // 000000008D38: BF8A0000
	v_mfma_f32_16x16x32_fp8_fp8 v[64:67], a[112:113], v[216:217], v[64:67]// 000000008D3C: D3F30040 0D03B170
	buffer_load_dwordx4 a[0:3], v34, s[24:27], 0 offen         // 000000008D44: E05C1000 80860022
	v_mfma_f32_16x16x32_fp8_fp8 v[64:67], a[114:115], v[218:219], v[64:67]// 000000008D4C: D3F30040 0D03B572
	v_mfma_f32_16x16x32_fp8_fp8 v[64:67], a[116:117], v[220:221], v[64:67]// 000000008D54: D3F30040 0D03B974
	v_mfma_f32_16x16x32_fp8_fp8 v[64:67], a[118:119], v[222:223], v[64:67]// 000000008D5C: D3F30040 0D03BD76
	v_mfma_f32_16x16x32_fp8_fp8 v[64:67], a[120:121], v[224:225], v[64:67]// 000000008D64: D3F30040 0D03C178
	buffer_load_dwordx4 a[4:7], v34, s[24:27], 0 offen offset:1024// 000000008D6C: E05C1400 80860422
	v_mfma_f32_16x16x32_fp8_fp8 v[64:67], a[122:123], v[226:227], v[64:67]// 000000008D74: D3F30040 0D03C57A
	v_mfma_f32_16x16x32_fp8_fp8 v[64:67], a[124:125], v[228:229], v[64:67]// 000000008D7C: D3F30040 0D03C97C
	v_mfma_f32_16x16x32_fp8_fp8 v[64:67], a[126:127], v[230:231], v[64:67]// 000000008D84: D3F30040 0D03CD7E
	v_mfma_f32_16x16x32_fp8_fp8 v[68:71], a[112:113], v[232:233], v[68:71]// 000000008D8C: D3F30044 0D13D170
	buffer_load_dwordx4 a[8:11], v34, s[24:27], 0 offen offset:2048// 000000008D94: E05C1800 80860822
	v_mfma_f32_16x16x32_fp8_fp8 v[68:71], a[114:115], v[234:235], v[68:71]// 000000008D9C: D3F30044 0D13D572
	v_mfma_f32_16x16x32_fp8_fp8 v[68:71], a[116:117], v[236:237], v[68:71]// 000000008DA4: D3F30044 0D13D974
	v_mfma_f32_16x16x32_fp8_fp8 v[68:71], a[118:119], v[238:239], v[68:71]// 000000008DAC: D3F30044 0D13DD76
	v_mfma_f32_16x16x32_fp8_fp8 v[68:71], a[120:121], v[240:241], v[68:71]// 000000008DB4: D3F30044 0D13E178
	buffer_load_dwordx4 a[12:15], v34, s[24:27], 0 offen offset:3072// 000000008DBC: E05C1C00 80860C22
	v_mfma_f32_16x16x32_fp8_fp8 v[68:71], a[122:123], v[242:243], v[68:71]// 000000008DC4: D3F30044 0D13E57A
	v_mfma_f32_16x16x32_fp8_fp8 v[68:71], a[124:125], v[244:245], v[68:71]// 000000008DCC: D3F30044 0D13E97C
	v_mfma_f32_16x16x32_fp8_fp8 v[68:71], a[126:127], v[246:247], v[68:71]// 000000008DD4: D3F30044 0D13ED7E
	v_mfma_f32_16x16x32_fp8_fp8 v[72:75], a[128:129], v[216:217], v[72:75]// 000000008DDC: D3F30048 0D23B180
	buffer_load_dwordx4 a[16:19], v35, s[24:27], 0 offen       // 000000008DE4: E05C1000 80861023
	v_mfma_f32_16x16x32_fp8_fp8 v[72:75], a[130:131], v[218:219], v[72:75]// 000000008DEC: D3F30048 0D23B582
	v_mfma_f32_16x16x32_fp8_fp8 v[72:75], a[132:133], v[220:221], v[72:75]// 000000008DF4: D3F30048 0D23B984
	v_mfma_f32_16x16x32_fp8_fp8 v[72:75], a[134:135], v[222:223], v[72:75]// 000000008DFC: D3F30048 0D23BD86
	v_mfma_f32_16x16x32_fp8_fp8 v[72:75], a[136:137], v[224:225], v[72:75]// 000000008E04: D3F30048 0D23C188
	buffer_load_dwordx4 a[20:23], v35, s[24:27], 0 offen offset:1024// 000000008E0C: E05C1400 80861423
	v_mfma_f32_16x16x32_fp8_fp8 v[72:75], a[138:139], v[226:227], v[72:75]// 000000008E14: D3F30048 0D23C58A
	v_mfma_f32_16x16x32_fp8_fp8 v[72:75], a[140:141], v[228:229], v[72:75]// 000000008E1C: D3F30048 0D23C98C
	v_mfma_f32_16x16x32_fp8_fp8 v[72:75], a[142:143], v[230:231], v[72:75]// 000000008E24: D3F30048 0D23CD8E
	v_mfma_f32_16x16x32_fp8_fp8 v[76:79], a[128:129], v[232:233], v[76:79]// 000000008E2C: D3F3004C 0D33D180
	buffer_load_dwordx4 a[24:27], v35, s[24:27], 0 offen offset:2048// 000000008E34: E05C1800 80861823
	v_mfma_f32_16x16x32_fp8_fp8 v[76:79], a[130:131], v[234:235], v[76:79]// 000000008E3C: D3F3004C 0D33D582
	v_mfma_f32_16x16x32_fp8_fp8 v[76:79], a[132:133], v[236:237], v[76:79]// 000000008E44: D3F3004C 0D33D984
	v_mfma_f32_16x16x32_fp8_fp8 v[76:79], a[134:135], v[238:239], v[76:79]// 000000008E4C: D3F3004C 0D33DD86
	v_mfma_f32_16x16x32_fp8_fp8 v[76:79], a[136:137], v[240:241], v[76:79]// 000000008E54: D3F3004C 0D33E188
	buffer_load_dwordx4 a[28:31], v35, s[24:27], 0 offen offset:3072// 000000008E5C: E05C1C00 80861C23
	v_mfma_f32_16x16x32_fp8_fp8 v[76:79], a[138:139], v[242:243], v[76:79]// 000000008E64: D3F3004C 0D33E58A
	v_mfma_f32_16x16x32_fp8_fp8 v[76:79], a[140:141], v[244:245], v[76:79]// 000000008E6C: D3F3004C 0D33E98C
	v_mfma_f32_16x16x32_fp8_fp8 v[76:79], a[142:143], v[246:247], v[76:79]// 000000008E74: D3F3004C 0D33ED8E
	s_waitcnt vmcnt(24)                                        // 000000008E7C: BF8C4F78
	v_mfma_f32_16x16x32_fp8_fp8 v[80:83], a[144:145], v[216:217], v[80:83]// 000000008E80: D3F30050 0D43B190
	buffer_load_dwordx4 a[32:35], v36, s[24:27], 0 offen       // 000000008E88: E05C1000 80862024
	v_mfma_f32_16x16x32_fp8_fp8 v[80:83], a[146:147], v[218:219], v[80:83]// 000000008E90: D3F30050 0D43B592
	v_mfma_f32_16x16x32_fp8_fp8 v[80:83], a[148:149], v[220:221], v[80:83]// 000000008E98: D3F30050 0D43B994
	ds_read_b128 v[184:187], v2                                // 000000008EA0: D9FE0000 B8000002
	v_mfma_f32_16x16x32_fp8_fp8 v[80:83], a[150:151], v[222:223], v[80:83]// 000000008EA8: D3F30050 0D43BD96
	v_mfma_f32_16x16x32_fp8_fp8 v[80:83], a[152:153], v[224:225], v[80:83]// 000000008EB0: D3F30050 0D43C198
	buffer_load_dwordx4 a[36:39], v36, s[24:27], 0 offen offset:1024// 000000008EB8: E05C1400 80862424
	v_mfma_f32_16x16x32_fp8_fp8 v[80:83], a[154:155], v[226:227], v[80:83]// 000000008EC0: D3F30050 0D43C59A
	v_mfma_f32_16x16x32_fp8_fp8 v[80:83], a[156:157], v[228:229], v[80:83]// 000000008EC8: D3F30050 0D43C99C
	ds_read_b128 v[188:191], v2 offset:64                      // 000000008ED0: D9FE0040 BC000002
	v_mfma_f32_16x16x32_fp8_fp8 v[80:83], a[158:159], v[230:231], v[80:83]// 000000008ED8: D3F30050 0D43CD9E
	v_mfma_f32_16x16x32_fp8_fp8 v[84:87], a[144:145], v[232:233], v[84:87]// 000000008EE0: D3F30054 0D53D190
	buffer_load_dwordx4 a[40:43], v36, s[24:27], 0 offen offset:2048// 000000008EE8: E05C1800 80862824
	v_mfma_f32_16x16x32_fp8_fp8 v[84:87], a[146:147], v[234:235], v[84:87]// 000000008EF0: D3F30054 0D53D592
	v_mfma_f32_16x16x32_fp8_fp8 v[84:87], a[148:149], v[236:237], v[84:87]// 000000008EF8: D3F30054 0D53D994
	ds_read_b128 v[192:195], v2 offset:128                     // 000000008F00: D9FE0080 C0000002
	v_mfma_f32_16x16x32_fp8_fp8 v[84:87], a[150:151], v[238:239], v[84:87]// 000000008F08: D3F30054 0D53DD96
	v_mfma_f32_16x16x32_fp8_fp8 v[84:87], a[152:153], v[240:241], v[84:87]// 000000008F10: D3F30054 0D53E198
	buffer_load_dwordx4 a[44:47], v36, s[24:27], 0 offen offset:3072// 000000008F18: E05C1C00 80862C24
	v_mfma_f32_16x16x32_fp8_fp8 v[84:87], a[154:155], v[242:243], v[84:87]// 000000008F20: D3F30054 0D53E59A
	v_mfma_f32_16x16x32_fp8_fp8 v[84:87], a[156:157], v[244:245], v[84:87]// 000000008F28: D3F30054 0D53E99C
	ds_read_b128 v[196:199], v2 offset:192                     // 000000008F30: D9FE00C0 C4000002
	v_mfma_f32_16x16x32_fp8_fp8 v[84:87], a[158:159], v[246:247], v[84:87]// 000000008F38: D3F30054 0D53ED9E
	s_waitcnt vmcnt(24)                                        // 000000008F40: BF8C4F78
	v_mfma_f32_16x16x32_fp8_fp8 v[88:91], a[160:161], v[216:217], v[88:91]// 000000008F44: D3F30058 0D63B1A0
	buffer_load_dwordx4 a[48:51], v37, s[24:27], 0 offen       // 000000008F4C: E05C1000 80863025
	v_mfma_f32_16x16x32_fp8_fp8 v[88:91], a[162:163], v[218:219], v[88:91]// 000000008F54: D3F30058 0D63B5A2
	v_mfma_f32_16x16x32_fp8_fp8 v[88:91], a[164:165], v[220:221], v[88:91]// 000000008F5C: D3F30058 0D63B9A4
	ds_read_b128 v[200:203], v2 offset:1024                    // 000000008F64: D9FE0400 C8000002
	v_mfma_f32_16x16x32_fp8_fp8 v[88:91], a[166:167], v[222:223], v[88:91]// 000000008F6C: D3F30058 0D63BDA6
	v_mfma_f32_16x16x32_fp8_fp8 v[88:91], a[168:169], v[224:225], v[88:91]// 000000008F74: D3F30058 0D63C1A8
	buffer_load_dwordx4 a[52:55], v37, s[24:27], 0 offen offset:1024// 000000008F7C: E05C1400 80863425
	v_mfma_f32_16x16x32_fp8_fp8 v[88:91], a[170:171], v[226:227], v[88:91]// 000000008F84: D3F30058 0D63C5AA
	v_mfma_f32_16x16x32_fp8_fp8 v[88:91], a[172:173], v[228:229], v[88:91]// 000000008F8C: D3F30058 0D63C9AC
	ds_read_b128 v[204:207], v2 offset:1088                    // 000000008F94: D9FE0440 CC000002
	v_mfma_f32_16x16x32_fp8_fp8 v[88:91], a[174:175], v[230:231], v[88:91]// 000000008F9C: D3F30058 0D63CDAE
	v_mfma_f32_16x16x32_fp8_fp8 v[92:95], a[160:161], v[232:233], v[92:95]// 000000008FA4: D3F3005C 0D73D1A0
	buffer_load_dwordx4 a[56:59], v37, s[24:27], 0 offen offset:2048// 000000008FAC: E05C1800 80863825
	v_mfma_f32_16x16x32_fp8_fp8 v[92:95], a[162:163], v[234:235], v[92:95]// 000000008FB4: D3F3005C 0D73D5A2
	v_mfma_f32_16x16x32_fp8_fp8 v[92:95], a[164:165], v[236:237], v[92:95]// 000000008FBC: D3F3005C 0D73D9A4
	ds_read_b128 v[208:211], v2 offset:1152                    // 000000008FC4: D9FE0480 D0000002
	v_mfma_f32_16x16x32_fp8_fp8 v[92:95], a[166:167], v[238:239], v[92:95]// 000000008FCC: D3F3005C 0D73DDA6
	v_mfma_f32_16x16x32_fp8_fp8 v[92:95], a[168:169], v[240:241], v[92:95]// 000000008FD4: D3F3005C 0D73E1A8
	buffer_load_dwordx4 a[60:63], v37, s[24:27], 0 offen offset:3072// 000000008FDC: E05C1C00 80863C25
	v_mfma_f32_16x16x32_fp8_fp8 v[92:95], a[170:171], v[242:243], v[92:95]// 000000008FE4: D3F3005C 0D73E5AA
	v_mfma_f32_16x16x32_fp8_fp8 v[92:95], a[172:173], v[244:245], v[92:95]// 000000008FEC: D3F3005C 0D73E9AC
	ds_read_b128 v[212:215], v2 offset:1216                    // 000000008FF4: D9FE04C0 D4000002
	v_mfma_f32_16x16x32_fp8_fp8 v[92:95], a[174:175], v[246:247], v[92:95]// 000000008FFC: D3F3005C 0D73EDAE
	s_waitcnt vmcnt(24)                                        // 000000009004: BF8C4F78
	v_mfma_f32_16x16x32_fp8_fp8 v[96:99], a[176:177], v[216:217], v[96:99]// 000000009008: D3F30060 0D83B1B0
	buffer_load_dwordx4 a[64:67], v38, s[24:27], 0 offen       // 000000009010: E05C1000 80864026
	v_mfma_f32_16x16x32_fp8_fp8 v[96:99], a[178:179], v[218:219], v[96:99]// 000000009018: D3F30060 0D83B5B2
	v_mfma_f32_16x16x32_fp8_fp8 v[96:99], a[180:181], v[220:221], v[96:99]// 000000009020: D3F30060 0D83B9B4
	v_mfma_f32_16x16x32_fp8_fp8 v[96:99], a[182:183], v[222:223], v[96:99]// 000000009028: D3F30060 0D83BDB6
	v_mfma_f32_16x16x32_fp8_fp8 v[96:99], a[184:185], v[224:225], v[96:99]// 000000009030: D3F30060 0D83C1B8
	buffer_load_dwordx4 a[68:71], v38, s[24:27], 0 offen offset:1024// 000000009038: E05C1400 80864426
	v_mfma_f32_16x16x32_fp8_fp8 v[96:99], a[186:187], v[226:227], v[96:99]// 000000009040: D3F30060 0D83C5BA
	v_mfma_f32_16x16x32_fp8_fp8 v[96:99], a[188:189], v[228:229], v[96:99]// 000000009048: D3F30060 0D83C9BC
	v_mfma_f32_16x16x32_fp8_fp8 v[96:99], a[190:191], v[230:231], v[96:99]// 000000009050: D3F30060 0D83CDBE
	v_mfma_f32_16x16x32_fp8_fp8 v[100:103], a[176:177], v[232:233], v[100:103]// 000000009058: D3F30064 0D93D1B0
	buffer_load_dwordx4 a[72:75], v38, s[24:27], 0 offen offset:2048// 000000009060: E05C1800 80864826
	v_mfma_f32_16x16x32_fp8_fp8 v[100:103], a[178:179], v[234:235], v[100:103]// 000000009068: D3F30064 0D93D5B2
	v_mfma_f32_16x16x32_fp8_fp8 v[100:103], a[180:181], v[236:237], v[100:103]// 000000009070: D3F30064 0D93D9B4
	v_mfma_f32_16x16x32_fp8_fp8 v[100:103], a[182:183], v[238:239], v[100:103]// 000000009078: D3F30064 0D93DDB6
	v_mfma_f32_16x16x32_fp8_fp8 v[100:103], a[184:185], v[240:241], v[100:103]// 000000009080: D3F30064 0D93E1B8
	buffer_load_dwordx4 a[76:79], v38, s[24:27], 0 offen offset:3072// 000000009088: E05C1C00 80864C26
	v_mfma_f32_16x16x32_fp8_fp8 v[100:103], a[186:187], v[242:243], v[100:103]// 000000009090: D3F30064 0D93E5BA
	v_mfma_f32_16x16x32_fp8_fp8 v[100:103], a[188:189], v[244:245], v[100:103]// 000000009098: D3F30064 0D93E9BC
	v_mfma_f32_16x16x32_fp8_fp8 v[100:103], a[190:191], v[246:247], v[100:103]// 0000000090A0: D3F30064 0D93EDBE
	s_waitcnt vmcnt(24)                                        // 0000000090A8: BF8C4F78
	v_mfma_f32_16x16x32_fp8_fp8 v[104:107], a[192:193], v[216:217], v[104:107]// 0000000090AC: D3F30068 0DA3B1C0
	buffer_load_dwordx4 a[80:83], v39, s[24:27], 0 offen       // 0000000090B4: E05C1000 80865027
	v_mfma_f32_16x16x32_fp8_fp8 v[104:107], a[194:195], v[218:219], v[104:107]// 0000000090BC: D3F30068 0DA3B5C2
	v_mfma_f32_16x16x32_fp8_fp8 v[104:107], a[196:197], v[220:221], v[104:107]// 0000000090C4: D3F30068 0DA3B9C4
	v_mfma_f32_16x16x32_fp8_fp8 v[104:107], a[198:199], v[222:223], v[104:107]// 0000000090CC: D3F30068 0DA3BDC6
	v_mfma_f32_16x16x32_fp8_fp8 v[104:107], a[200:201], v[224:225], v[104:107]// 0000000090D4: D3F30068 0DA3C1C8
	buffer_load_dwordx4 a[84:87], v39, s[24:27], 0 offen offset:1024// 0000000090DC: E05C1400 80865427
	v_mfma_f32_16x16x32_fp8_fp8 v[104:107], a[202:203], v[226:227], v[104:107]// 0000000090E4: D3F30068 0DA3C5CA
	v_mfma_f32_16x16x32_fp8_fp8 v[104:107], a[204:205], v[228:229], v[104:107]// 0000000090EC: D3F30068 0DA3C9CC
	v_mfma_f32_16x16x32_fp8_fp8 v[104:107], a[206:207], v[230:231], v[104:107]// 0000000090F4: D3F30068 0DA3CDCE
	v_mfma_f32_16x16x32_fp8_fp8 v[108:111], a[192:193], v[232:233], v[108:111]// 0000000090FC: D3F3006C 0DB3D1C0
	buffer_load_dwordx4 a[88:91], v39, s[24:27], 0 offen offset:2048// 000000009104: E05C1800 80865827
	v_mfma_f32_16x16x32_fp8_fp8 v[108:111], a[194:195], v[234:235], v[108:111]// 00000000910C: D3F3006C 0DB3D5C2
	v_mfma_f32_16x16x32_fp8_fp8 v[108:111], a[196:197], v[236:237], v[108:111]// 000000009114: D3F3006C 0DB3D9C4
	v_mfma_f32_16x16x32_fp8_fp8 v[108:111], a[198:199], v[238:239], v[108:111]// 00000000911C: D3F3006C 0DB3DDC6
	v_mfma_f32_16x16x32_fp8_fp8 v[108:111], a[200:201], v[240:241], v[108:111]// 000000009124: D3F3006C 0DB3E1C8
	buffer_load_dwordx4 a[92:95], v39, s[24:27], 0 offen offset:3072// 00000000912C: E05C1C00 80865C27
	v_mfma_f32_16x16x32_fp8_fp8 v[108:111], a[202:203], v[242:243], v[108:111]// 000000009134: D3F3006C 0DB3E5CA
	v_mfma_f32_16x16x32_fp8_fp8 v[108:111], a[204:205], v[244:245], v[108:111]// 00000000913C: D3F3006C 0DB3E9CC
	v_mfma_f32_16x16x32_fp8_fp8 v[108:111], a[206:207], v[246:247], v[108:111]// 000000009144: D3F3006C 0DB3EDCE
	s_waitcnt vmcnt(24)                                        // 00000000914C: BF8C4F78
	v_mfma_f32_16x16x32_fp8_fp8 v[112:115], a[208:209], v[216:217], v[112:115]// 000000009150: D3F30070 0DC3B1D0
	buffer_load_dwordx4 a[96:99], v40, s[24:27], 0 offen       // 000000009158: E05C1000 80866028
	v_mfma_f32_16x16x32_fp8_fp8 v[112:115], a[210:211], v[218:219], v[112:115]// 000000009160: D3F30070 0DC3B5D2
	v_mfma_f32_16x16x32_fp8_fp8 v[112:115], a[212:213], v[220:221], v[112:115]// 000000009168: D3F30070 0DC3B9D4
	v_mfma_f32_16x16x32_fp8_fp8 v[112:115], a[214:215], v[222:223], v[112:115]// 000000009170: D3F30070 0DC3BDD6
	v_mfma_f32_16x16x32_fp8_fp8 v[112:115], a[216:217], v[224:225], v[112:115]// 000000009178: D3F30070 0DC3C1D8
	buffer_load_dwordx4 a[100:103], v40, s[24:27], 0 offen offset:1024// 000000009180: E05C1400 80866428
	v_mfma_f32_16x16x32_fp8_fp8 v[112:115], a[218:219], v[226:227], v[112:115]// 000000009188: D3F30070 0DC3C5DA
	v_mfma_f32_16x16x32_fp8_fp8 v[112:115], a[220:221], v[228:229], v[112:115]// 000000009190: D3F30070 0DC3C9DC
	v_mfma_f32_16x16x32_fp8_fp8 v[112:115], a[222:223], v[230:231], v[112:115]// 000000009198: D3F30070 0DC3CDDE
	v_mfma_f32_16x16x32_fp8_fp8 v[116:119], a[208:209], v[232:233], v[116:119]// 0000000091A0: D3F30074 0DD3D1D0
	buffer_load_dwordx4 a[104:107], v40, s[24:27], 0 offen offset:2048// 0000000091A8: E05C1800 80866828
	v_mfma_f32_16x16x32_fp8_fp8 v[116:119], a[210:211], v[234:235], v[116:119]// 0000000091B0: D3F30074 0DD3D5D2
	v_mfma_f32_16x16x32_fp8_fp8 v[116:119], a[212:213], v[236:237], v[116:119]// 0000000091B8: D3F30074 0DD3D9D4
	v_mfma_f32_16x16x32_fp8_fp8 v[116:119], a[214:215], v[238:239], v[116:119]// 0000000091C0: D3F30074 0DD3DDD6
	v_mfma_f32_16x16x32_fp8_fp8 v[116:119], a[216:217], v[240:241], v[116:119]// 0000000091C8: D3F30074 0DD3E1D8
	buffer_load_dwordx4 a[108:111], v40, s[24:27], 0 offen offset:3072// 0000000091D0: E05C1C00 80866C28
	v_mfma_f32_16x16x32_fp8_fp8 v[116:119], a[218:219], v[242:243], v[116:119]// 0000000091D8: D3F30074 0DD3E5DA
	v_mfma_f32_16x16x32_fp8_fp8 v[116:119], a[220:221], v[244:245], v[116:119]// 0000000091E0: D3F30074 0DD3E9DC
	v_mfma_f32_16x16x32_fp8_fp8 v[116:119], a[222:223], v[246:247], v[116:119]// 0000000091E8: D3F30074 0DD3EDDE
	s_add_u32 s60, 0x200, s80                                  // 0000000091F0: 803C50FF 00000200
	s_cmp_lt_u32 s60, s81                                      // 0000000091F8: BF0A513C
	s_cselect_b32 s57, s57, 0                                  // 0000000091FC: 85398039
	s_add_u32 s60, 0x200, s80                                  // 000000009200: 803C50FF 00000200
	s_cmp_lt_u32 s60, s81                                      // 000000009208: BF0A513C
	s_cselect_b32 s58, s58, 0                                  // 00000000920C: 853A803A
	s_add_u32 s20, s57, s20                                    // 000000009210: 80141439
	s_addc_u32 s21, 0, s21                                     // 000000009214: 82151580
	s_add_u32 s24, s58, s24                                    // 000000009218: 8018183A
	s_addc_u32 s25, 0, s25                                     // 00000000921C: 82191980
	s_add_u32 s92, s90, s92                                    // 000000009220: 805C5C5A
	s_addc_u32 s93, 0, s93                                     // 000000009224: 825D5D80
	s_addk_i32 s80, 0x100                                      // 000000009228: B7500100
	s_cmp_lt_i32 s80, s81                                      // 00000000922C: BF045150
	s_cbranch_scc0 label_190E                                  // 000000009230: BF840001
	s_branch label_1411                                        // 000000009234: BF82FB03

0000000000009238 <label_190E>:
	s_mov_b32 s36, -1                                          // 000000009238: BEA400C1
	s_mov_b32 s37, -1                                          // 00000000923C: BEA500C1
	s_mov_b64 s[60:61], 0                                      // 000000009240: BEBC0180
	s_cmp_lt_u32 s82, s66                                      // 000000009244: BF0A4252
	s_cselect_b64 s[20:21], s[36:37], s[60:61]                 // 000000009248: 85943C24
	s_cmp_lt_u32 s83, s66                                      // 00000000924C: BF0A4253
	s_cselect_b64 s[22:23], s[36:37], s[60:61]                 // 000000009250: 85963C24
	s_cmp_lt_u32 s84, s66                                      // 000000009254: BF0A4254
	s_cselect_b64 s[24:25], s[36:37], s[60:61]                 // 000000009258: 85983C24
	s_cmp_lt_u32 s85, s66                                      // 00000000925C: BF0A4255
	s_cselect_b64 s[26:27], s[36:37], s[60:61]                 // 000000009260: 859A3C24
	s_cmp_lt_u32 s86, s66                                      // 000000009264: BF0A4256
	s_cselect_b64 s[28:29], s[36:37], s[60:61]                 // 000000009268: 859C3C24
	s_cmp_lt_u32 s87, s66                                      // 00000000926C: BF0A4257
	s_cselect_b64 s[30:31], s[36:37], s[60:61]                 // 000000009270: 859E3C24
	s_cmp_lt_u32 s88, s66                                      // 000000009274: BF0A4258
	s_cselect_b64 s[32:33], s[36:37], s[60:61]                 // 000000009278: 85A03C24
	s_cmp_lt_u32 s89, s66                                      // 00000000927C: BF0A4259
	s_cselect_b64 s[34:35], s[36:37], s[60:61]                 // 000000009280: 85A23C24
	v_mul_f32_e32 v128, v14, v128                              // 000000009284: 0B01010E
	v_mul_f32_e32 v128, v20, v128                              // 000000009288: 0B010114
	v_mul_f32_e32 v129, v14, v129                              // 00000000928C: 0B03030E
	v_mul_f32_e32 v129, v20, v129                              // 000000009290: 0B030314
	v_mul_f32_e32 v130, v14, v130                              // 000000009294: 0B05050E
	v_mul_f32_e32 v130, v20, v130                              // 000000009298: 0B050514
	v_mul_f32_e32 v131, v14, v131                              // 00000000929C: 0B07070E
	v_mul_f32_e32 v131, v20, v131                              // 0000000092A0: 0B070714
	v_mul_f32_dpp v128, v16, v128 row_newbcast:0 row_mask:0xf bank_mask:0xf// 0000000092A4: 0B0100FA FF015010
	v_mul_f32_dpp v129, v16, v129 row_newbcast:1 row_mask:0xf bank_mask:0xf// 0000000092AC: 0B0302FA FF015110
	v_mul_f32_dpp v130, v16, v130 row_newbcast:2 row_mask:0xf bank_mask:0xf// 0000000092B4: 0B0504FA FF015210
	v_mul_f32_dpp v131, v16, v131 row_newbcast:3 row_mask:0xf bank_mask:0xf// 0000000092BC: 0B0706FA FF015310
	v_mul_f32_e32 v132, v15, v132                              // 0000000092C4: 0B09090F
	v_mul_f32_e32 v132, v21, v132                              // 0000000092C8: 0B090915
	v_mul_f32_e32 v133, v15, v133                              // 0000000092CC: 0B0B0B0F
	v_mul_f32_e32 v133, v21, v133                              // 0000000092D0: 0B0B0B15
	v_mul_f32_e32 v134, v15, v134                              // 0000000092D4: 0B0D0D0F
	v_mul_f32_e32 v134, v21, v134                              // 0000000092D8: 0B0D0D15
	v_mul_f32_e32 v135, v15, v135                              // 0000000092DC: 0B0F0F0F
	v_mul_f32_e32 v135, v21, v135                              // 0000000092E0: 0B0F0F15
	v_mul_f32_dpp v132, v16, v132 row_newbcast:0 row_mask:0xf bank_mask:0xf// 0000000092E4: 0B0908FA FF015010
	v_mul_f32_dpp v133, v16, v133 row_newbcast:1 row_mask:0xf bank_mask:0xf// 0000000092EC: 0B0B0AFA FF015110
	v_mul_f32_dpp v134, v16, v134 row_newbcast:2 row_mask:0xf bank_mask:0xf// 0000000092F4: 0B0D0CFA FF015210
	v_mul_f32_dpp v135, v16, v135 row_newbcast:3 row_mask:0xf bank_mask:0xf// 0000000092FC: 0B0F0EFA FF015310
	v_mul_f32_e32 v136, v14, v136                              // 000000009304: 0B11110E
	v_mul_f32_e32 v136, v20, v136                              // 000000009308: 0B111114
	v_mul_f32_e32 v137, v14, v137                              // 00000000930C: 0B13130E
	v_mul_f32_e32 v137, v20, v137                              // 000000009310: 0B131314
	v_mul_f32_e32 v138, v14, v138                              // 000000009314: 0B15150E
	v_mul_f32_e32 v138, v20, v138                              // 000000009318: 0B151514
	v_mul_f32_e32 v139, v14, v139                              // 00000000931C: 0B17170E
	v_mul_f32_e32 v139, v20, v139                              // 000000009320: 0B171714
	v_mul_f32_dpp v136, v16, v136 row_newbcast:4 row_mask:0xf bank_mask:0xf// 000000009324: 0B1110FA FF015410
	v_mul_f32_dpp v137, v16, v137 row_newbcast:5 row_mask:0xf bank_mask:0xf// 00000000932C: 0B1312FA FF015510
	v_mul_f32_dpp v138, v16, v138 row_newbcast:6 row_mask:0xf bank_mask:0xf// 000000009334: 0B1514FA FF015610
	v_mul_f32_dpp v139, v16, v139 row_newbcast:7 row_mask:0xf bank_mask:0xf// 00000000933C: 0B1716FA FF015710
	v_mul_f32_e32 v140, v15, v140                              // 000000009344: 0B19190F
	v_mul_f32_e32 v140, v21, v140                              // 000000009348: 0B191915
	v_mul_f32_e32 v141, v15, v141                              // 00000000934C: 0B1B1B0F
	v_mul_f32_e32 v141, v21, v141                              // 000000009350: 0B1B1B15
	v_mul_f32_e32 v142, v15, v142                              // 000000009354: 0B1D1D0F
	v_mul_f32_e32 v142, v21, v142                              // 000000009358: 0B1D1D15
	v_mul_f32_e32 v143, v15, v143                              // 00000000935C: 0B1F1F0F
	v_mul_f32_e32 v143, v21, v143                              // 000000009360: 0B1F1F15
	v_mul_f32_dpp v140, v16, v140 row_newbcast:4 row_mask:0xf bank_mask:0xf// 000000009364: 0B1918FA FF015410
	v_mul_f32_dpp v141, v16, v141 row_newbcast:5 row_mask:0xf bank_mask:0xf// 00000000936C: 0B1B1AFA FF015510
	v_mul_f32_dpp v142, v16, v142 row_newbcast:6 row_mask:0xf bank_mask:0xf// 000000009374: 0B1D1CFA FF015610
	v_mul_f32_dpp v143, v16, v143 row_newbcast:7 row_mask:0xf bank_mask:0xf// 00000000937C: 0B1F1EFA FF015710
	v_mul_f32_e32 v144, v14, v144                              // 000000009384: 0B21210E
	v_mul_f32_e32 v144, v20, v144                              // 000000009388: 0B212114
	v_mul_f32_e32 v145, v14, v145                              // 00000000938C: 0B23230E
	v_mul_f32_e32 v145, v20, v145                              // 000000009390: 0B232314
	v_mul_f32_e32 v146, v14, v146                              // 000000009394: 0B25250E
	v_mul_f32_e32 v146, v20, v146                              // 000000009398: 0B252514
	v_mul_f32_e32 v147, v14, v147                              // 00000000939C: 0B27270E
	v_mul_f32_e32 v147, v20, v147                              // 0000000093A0: 0B272714
	v_mul_f32_dpp v144, v16, v144 row_newbcast:8 row_mask:0xf bank_mask:0xf// 0000000093A4: 0B2120FA FF015810
	v_mul_f32_dpp v145, v16, v145 row_newbcast:9 row_mask:0xf bank_mask:0xf// 0000000093AC: 0B2322FA FF015910
	v_mul_f32_dpp v146, v16, v146 row_newbcast:10 row_mask:0xf bank_mask:0xf// 0000000093B4: 0B2524FA FF015A10
	v_mul_f32_dpp v147, v16, v147 row_newbcast:11 row_mask:0xf bank_mask:0xf// 0000000093BC: 0B2726FA FF015B10
	v_mul_f32_e32 v148, v15, v148                              // 0000000093C4: 0B29290F
	v_mul_f32_e32 v148, v21, v148                              // 0000000093C8: 0B292915
	v_mul_f32_e32 v149, v15, v149                              // 0000000093CC: 0B2B2B0F
	v_mul_f32_e32 v149, v21, v149                              // 0000000093D0: 0B2B2B15
	v_mul_f32_e32 v150, v15, v150                              // 0000000093D4: 0B2D2D0F
	v_mul_f32_e32 v150, v21, v150                              // 0000000093D8: 0B2D2D15
	v_mul_f32_e32 v151, v15, v151                              // 0000000093DC: 0B2F2F0F
	v_mul_f32_e32 v151, v21, v151                              // 0000000093E0: 0B2F2F15
	v_mul_f32_dpp v148, v16, v148 row_newbcast:8 row_mask:0xf bank_mask:0xf// 0000000093E4: 0B2928FA FF015810
	v_mul_f32_dpp v149, v16, v149 row_newbcast:9 row_mask:0xf bank_mask:0xf// 0000000093EC: 0B2B2AFA FF015910
	v_mul_f32_dpp v150, v16, v150 row_newbcast:10 row_mask:0xf bank_mask:0xf// 0000000093F4: 0B2D2CFA FF015A10
	v_mul_f32_dpp v151, v16, v151 row_newbcast:11 row_mask:0xf bank_mask:0xf// 0000000093FC: 0B2F2EFA FF015B10
	v_mul_f32_e32 v152, v14, v152                              // 000000009404: 0B31310E
	v_mul_f32_e32 v152, v20, v152                              // 000000009408: 0B313114
	v_mul_f32_e32 v153, v14, v153                              // 00000000940C: 0B33330E
	v_mul_f32_e32 v153, v20, v153                              // 000000009410: 0B333314
	v_mul_f32_e32 v154, v14, v154                              // 000000009414: 0B35350E
	v_mul_f32_e32 v154, v20, v154                              // 000000009418: 0B353514
	v_mul_f32_e32 v155, v14, v155                              // 00000000941C: 0B37370E
	v_mul_f32_e32 v155, v20, v155                              // 000000009420: 0B373714
	v_mul_f32_dpp v152, v16, v152 row_newbcast:12 row_mask:0xf bank_mask:0xf// 000000009424: 0B3130FA FF015C10
	v_mul_f32_dpp v153, v16, v153 row_newbcast:13 row_mask:0xf bank_mask:0xf// 00000000942C: 0B3332FA FF015D10
	v_mul_f32_dpp v154, v16, v154 row_newbcast:14 row_mask:0xf bank_mask:0xf// 000000009434: 0B3534FA FF015E10
	v_mul_f32_dpp v155, v16, v155 row_newbcast:15 row_mask:0xf bank_mask:0xf// 00000000943C: 0B3736FA FF015F10
	v_mul_f32_e32 v156, v15, v156                              // 000000009444: 0B39390F
	v_mul_f32_e32 v156, v21, v156                              // 000000009448: 0B393915
	v_mul_f32_e32 v157, v15, v157                              // 00000000944C: 0B3B3B0F
	v_mul_f32_e32 v157, v21, v157                              // 000000009450: 0B3B3B15
	v_mul_f32_e32 v158, v15, v158                              // 000000009454: 0B3D3D0F
	v_mul_f32_e32 v158, v21, v158                              // 000000009458: 0B3D3D15
	v_mul_f32_e32 v159, v15, v159                              // 00000000945C: 0B3F3F0F
	v_mul_f32_e32 v159, v21, v159                              // 000000009460: 0B3F3F15
	v_mul_f32_dpp v156, v16, v156 row_newbcast:12 row_mask:0xf bank_mask:0xf// 000000009464: 0B3938FA FF015C10
	v_mul_f32_dpp v157, v16, v157 row_newbcast:13 row_mask:0xf bank_mask:0xf// 00000000946C: 0B3B3AFA FF015D10
	v_mul_f32_dpp v158, v16, v158 row_newbcast:14 row_mask:0xf bank_mask:0xf// 000000009474: 0B3D3CFA FF015E10
	v_mul_f32_dpp v159, v16, v159 row_newbcast:15 row_mask:0xf bank_mask:0xf// 00000000947C: 0B3F3EFA FF015F10
	v_mul_f32_e32 v160, v14, v160                              // 000000009484: 0B41410E
	v_mul_f32_e32 v160, v20, v160                              // 000000009488: 0B414114
	v_mul_f32_e32 v161, v14, v161                              // 00000000948C: 0B43430E
	v_mul_f32_e32 v161, v20, v161                              // 000000009490: 0B434314
	v_mul_f32_e32 v162, v14, v162                              // 000000009494: 0B45450E
	v_mul_f32_e32 v162, v20, v162                              // 000000009498: 0B454514
	v_mul_f32_e32 v163, v14, v163                              // 00000000949C: 0B47470E
	v_mul_f32_e32 v163, v20, v163                              // 0000000094A0: 0B474714
	v_mul_f32_dpp v160, v17, v160 row_newbcast:0 row_mask:0xf bank_mask:0xf// 0000000094A4: 0B4140FA FF015011
	v_mul_f32_dpp v161, v17, v161 row_newbcast:1 row_mask:0xf bank_mask:0xf// 0000000094AC: 0B4342FA FF015111
	v_mul_f32_dpp v162, v17, v162 row_newbcast:2 row_mask:0xf bank_mask:0xf// 0000000094B4: 0B4544FA FF015211
	v_mul_f32_dpp v163, v17, v163 row_newbcast:3 row_mask:0xf bank_mask:0xf// 0000000094BC: 0B4746FA FF015311
	v_mul_f32_e32 v164, v15, v164                              // 0000000094C4: 0B49490F
	v_mul_f32_e32 v164, v21, v164                              // 0000000094C8: 0B494915
	v_mul_f32_e32 v165, v15, v165                              // 0000000094CC: 0B4B4B0F
	v_mul_f32_e32 v165, v21, v165                              // 0000000094D0: 0B4B4B15
	v_mul_f32_e32 v166, v15, v166                              // 0000000094D4: 0B4D4D0F
	v_mul_f32_e32 v166, v21, v166                              // 0000000094D8: 0B4D4D15
	v_mul_f32_e32 v167, v15, v167                              // 0000000094DC: 0B4F4F0F
	v_mul_f32_e32 v167, v21, v167                              // 0000000094E0: 0B4F4F15
	v_mul_f32_dpp v164, v17, v164 row_newbcast:0 row_mask:0xf bank_mask:0xf// 0000000094E4: 0B4948FA FF015011
	v_mul_f32_dpp v165, v17, v165 row_newbcast:1 row_mask:0xf bank_mask:0xf// 0000000094EC: 0B4B4AFA FF015111
	v_mul_f32_dpp v166, v17, v166 row_newbcast:2 row_mask:0xf bank_mask:0xf// 0000000094F4: 0B4D4CFA FF015211
	v_mul_f32_dpp v167, v17, v167 row_newbcast:3 row_mask:0xf bank_mask:0xf// 0000000094FC: 0B4F4EFA FF015311
	v_mul_f32_e32 v168, v14, v168                              // 000000009504: 0B51510E
	v_mul_f32_e32 v168, v20, v168                              // 000000009508: 0B515114
	v_mul_f32_e32 v169, v14, v169                              // 00000000950C: 0B53530E
	v_mul_f32_e32 v169, v20, v169                              // 000000009510: 0B535314
	v_mul_f32_e32 v170, v14, v170                              // 000000009514: 0B55550E
	v_mul_f32_e32 v170, v20, v170                              // 000000009518: 0B555514
	v_mul_f32_e32 v171, v14, v171                              // 00000000951C: 0B57570E
	v_mul_f32_e32 v171, v20, v171                              // 000000009520: 0B575714
	v_mul_f32_dpp v168, v17, v168 row_newbcast:4 row_mask:0xf bank_mask:0xf// 000000009524: 0B5150FA FF015411
	v_mul_f32_dpp v169, v17, v169 row_newbcast:5 row_mask:0xf bank_mask:0xf// 00000000952C: 0B5352FA FF015511
	v_mul_f32_dpp v170, v17, v170 row_newbcast:6 row_mask:0xf bank_mask:0xf// 000000009534: 0B5554FA FF015611
	v_mul_f32_dpp v171, v17, v171 row_newbcast:7 row_mask:0xf bank_mask:0xf// 00000000953C: 0B5756FA FF015711
	v_mul_f32_e32 v172, v15, v172                              // 000000009544: 0B59590F
	v_mul_f32_e32 v172, v21, v172                              // 000000009548: 0B595915
	v_mul_f32_e32 v173, v15, v173                              // 00000000954C: 0B5B5B0F
	v_mul_f32_e32 v173, v21, v173                              // 000000009550: 0B5B5B15
	v_mul_f32_e32 v174, v15, v174                              // 000000009554: 0B5D5D0F
	v_mul_f32_e32 v174, v21, v174                              // 000000009558: 0B5D5D15
	v_mul_f32_e32 v175, v15, v175                              // 00000000955C: 0B5F5F0F
	v_mul_f32_e32 v175, v21, v175                              // 000000009560: 0B5F5F15
	v_mul_f32_dpp v172, v17, v172 row_newbcast:4 row_mask:0xf bank_mask:0xf// 000000009564: 0B5958FA FF015411
	v_mul_f32_dpp v173, v17, v173 row_newbcast:5 row_mask:0xf bank_mask:0xf// 00000000956C: 0B5B5AFA FF015511
	v_mul_f32_dpp v174, v17, v174 row_newbcast:6 row_mask:0xf bank_mask:0xf// 000000009574: 0B5D5CFA FF015611
	v_mul_f32_dpp v175, v17, v175 row_newbcast:7 row_mask:0xf bank_mask:0xf// 00000000957C: 0B5F5EFA FF015711
	v_mul_f32_e32 v176, v14, v176                              // 000000009584: 0B61610E
	v_mul_f32_e32 v176, v20, v176                              // 000000009588: 0B616114
	v_mul_f32_e32 v177, v14, v177                              // 00000000958C: 0B63630E
	v_mul_f32_e32 v177, v20, v177                              // 000000009590: 0B636314
	v_mul_f32_e32 v178, v14, v178                              // 000000009594: 0B65650E
	v_mul_f32_e32 v178, v20, v178                              // 000000009598: 0B656514
	v_mul_f32_e32 v179, v14, v179                              // 00000000959C: 0B67670E
	v_mul_f32_e32 v179, v20, v179                              // 0000000095A0: 0B676714
	v_mul_f32_dpp v176, v17, v176 row_newbcast:8 row_mask:0xf bank_mask:0xf// 0000000095A4: 0B6160FA FF015811
	v_mul_f32_dpp v177, v17, v177 row_newbcast:9 row_mask:0xf bank_mask:0xf// 0000000095AC: 0B6362FA FF015911
	v_mul_f32_dpp v178, v17, v178 row_newbcast:10 row_mask:0xf bank_mask:0xf// 0000000095B4: 0B6564FA FF015A11
	v_mul_f32_dpp v179, v17, v179 row_newbcast:11 row_mask:0xf bank_mask:0xf// 0000000095BC: 0B6766FA FF015B11
	v_mul_f32_e32 v180, v15, v180                              // 0000000095C4: 0B69690F
	v_mul_f32_e32 v180, v21, v180                              // 0000000095C8: 0B696915
	v_mul_f32_e32 v181, v15, v181                              // 0000000095CC: 0B6B6B0F
	v_mul_f32_e32 v181, v21, v181                              // 0000000095D0: 0B6B6B15
	v_mul_f32_e32 v182, v15, v182                              // 0000000095D4: 0B6D6D0F
	v_mul_f32_e32 v182, v21, v182                              // 0000000095D8: 0B6D6D15
	v_mul_f32_e32 v183, v15, v183                              // 0000000095DC: 0B6F6F0F
	v_mul_f32_e32 v183, v21, v183                              // 0000000095E0: 0B6F6F15
	v_mul_f32_dpp v180, v17, v180 row_newbcast:8 row_mask:0xf bank_mask:0xf// 0000000095E4: 0B6968FA FF015811
	v_mul_f32_dpp v181, v17, v181 row_newbcast:9 row_mask:0xf bank_mask:0xf// 0000000095EC: 0B6B6AFA FF015911
	v_mul_f32_dpp v182, v17, v182 row_newbcast:10 row_mask:0xf bank_mask:0xf// 0000000095F4: 0B6D6CFA FF015A11
	v_mul_f32_dpp v183, v17, v183 row_newbcast:11 row_mask:0xf bank_mask:0xf// 0000000095FC: 0B6F6EFA FF015B11
	v_mul_f32_e32 v64, v14, v64                                // 000000009604: 0A80810E
	v_mul_f32_e32 v64, v20, v64                                // 000000009608: 0A808114
	v_mul_f32_e32 v65, v14, v65                                // 00000000960C: 0A82830E
	v_mul_f32_e32 v65, v20, v65                                // 000000009610: 0A828314
	v_mul_f32_e32 v66, v14, v66                                // 000000009614: 0A84850E
	v_mul_f32_e32 v66, v20, v66                                // 000000009618: 0A848514
	v_mul_f32_e32 v67, v14, v67                                // 00000000961C: 0A86870E
	v_mul_f32_e32 v67, v20, v67                                // 000000009620: 0A868714
	v_mul_f32_dpp v64, v49, v64 row_newbcast:0 row_mask:0xf bank_mask:0xf// 000000009624: 0A8080FA FF015031
	v_mul_f32_dpp v65, v49, v65 row_newbcast:1 row_mask:0xf bank_mask:0xf// 00000000962C: 0A8282FA FF015131
	v_mul_f32_dpp v66, v49, v66 row_newbcast:2 row_mask:0xf bank_mask:0xf// 000000009634: 0A8484FA FF015231
	v_mul_f32_dpp v67, v49, v67 row_newbcast:3 row_mask:0xf bank_mask:0xf// 00000000963C: 0A8686FA FF015331
	v_mul_f32_e32 v68, v15, v68                                // 000000009644: 0A88890F
	v_mul_f32_e32 v68, v21, v68                                // 000000009648: 0A888915
	v_mul_f32_e32 v69, v15, v69                                // 00000000964C: 0A8A8B0F
	v_mul_f32_e32 v69, v21, v69                                // 000000009650: 0A8A8B15
	v_mul_f32_e32 v70, v15, v70                                // 000000009654: 0A8C8D0F
	v_mul_f32_e32 v70, v21, v70                                // 000000009658: 0A8C8D15
	v_mul_f32_e32 v71, v15, v71                                // 00000000965C: 0A8E8F0F
	v_mul_f32_e32 v71, v21, v71                                // 000000009660: 0A8E8F15
	v_mul_f32_dpp v68, v49, v68 row_newbcast:0 row_mask:0xf bank_mask:0xf// 000000009664: 0A8888FA FF015031
	v_mul_f32_dpp v69, v49, v69 row_newbcast:1 row_mask:0xf bank_mask:0xf// 00000000966C: 0A8A8AFA FF015131
	v_mul_f32_dpp v70, v49, v70 row_newbcast:2 row_mask:0xf bank_mask:0xf// 000000009674: 0A8C8CFA FF015231
	v_mul_f32_dpp v71, v49, v71 row_newbcast:3 row_mask:0xf bank_mask:0xf// 00000000967C: 0A8E8EFA FF015331
	v_mul_f32_e32 v72, v14, v72                                // 000000009684: 0A90910E
	v_mul_f32_e32 v72, v20, v72                                // 000000009688: 0A909114
	v_mul_f32_e32 v73, v14, v73                                // 00000000968C: 0A92930E
	v_mul_f32_e32 v73, v20, v73                                // 000000009690: 0A929314
	v_mul_f32_e32 v74, v14, v74                                // 000000009694: 0A94950E
	v_mul_f32_e32 v74, v20, v74                                // 000000009698: 0A949514
	v_mul_f32_e32 v75, v14, v75                                // 00000000969C: 0A96970E
	v_mul_f32_e32 v75, v20, v75                                // 0000000096A0: 0A969714
	v_mul_f32_dpp v72, v49, v72 row_newbcast:4 row_mask:0xf bank_mask:0xf// 0000000096A4: 0A9090FA FF015431
	v_mul_f32_dpp v73, v49, v73 row_newbcast:5 row_mask:0xf bank_mask:0xf// 0000000096AC: 0A9292FA FF015531
	v_mul_f32_dpp v74, v49, v74 row_newbcast:6 row_mask:0xf bank_mask:0xf// 0000000096B4: 0A9494FA FF015631
	v_mul_f32_dpp v75, v49, v75 row_newbcast:7 row_mask:0xf bank_mask:0xf// 0000000096BC: 0A9696FA FF015731
	v_mul_f32_e32 v76, v15, v76                                // 0000000096C4: 0A98990F
	v_mul_f32_e32 v76, v21, v76                                // 0000000096C8: 0A989915
	v_mul_f32_e32 v77, v15, v77                                // 0000000096CC: 0A9A9B0F
	v_mul_f32_e32 v77, v21, v77                                // 0000000096D0: 0A9A9B15
	v_mul_f32_e32 v78, v15, v78                                // 0000000096D4: 0A9C9D0F
	v_mul_f32_e32 v78, v21, v78                                // 0000000096D8: 0A9C9D15
	v_mul_f32_e32 v79, v15, v79                                // 0000000096DC: 0A9E9F0F
	v_mul_f32_e32 v79, v21, v79                                // 0000000096E0: 0A9E9F15
	v_mul_f32_dpp v76, v49, v76 row_newbcast:4 row_mask:0xf bank_mask:0xf// 0000000096E4: 0A9898FA FF015431
	v_mul_f32_dpp v77, v49, v77 row_newbcast:5 row_mask:0xf bank_mask:0xf// 0000000096EC: 0A9A9AFA FF015531
	v_mul_f32_dpp v78, v49, v78 row_newbcast:6 row_mask:0xf bank_mask:0xf// 0000000096F4: 0A9C9CFA FF015631
	v_mul_f32_dpp v79, v49, v79 row_newbcast:7 row_mask:0xf bank_mask:0xf// 0000000096FC: 0A9E9EFA FF015731
	v_mul_f32_e32 v80, v14, v80                                // 000000009704: 0AA0A10E
	v_mul_f32_e32 v80, v20, v80                                // 000000009708: 0AA0A114
	v_mul_f32_e32 v81, v14, v81                                // 00000000970C: 0AA2A30E
	v_mul_f32_e32 v81, v20, v81                                // 000000009710: 0AA2A314
	v_mul_f32_e32 v82, v14, v82                                // 000000009714: 0AA4A50E
	v_mul_f32_e32 v82, v20, v82                                // 000000009718: 0AA4A514
	v_mul_f32_e32 v83, v14, v83                                // 00000000971C: 0AA6A70E
	v_mul_f32_e32 v83, v20, v83                                // 000000009720: 0AA6A714
	v_mul_f32_dpp v80, v49, v80 row_newbcast:8 row_mask:0xf bank_mask:0xf// 000000009724: 0AA0A0FA FF015831
	v_mul_f32_dpp v81, v49, v81 row_newbcast:9 row_mask:0xf bank_mask:0xf// 00000000972C: 0AA2A2FA FF015931
	v_mul_f32_dpp v82, v49, v82 row_newbcast:10 row_mask:0xf bank_mask:0xf// 000000009734: 0AA4A4FA FF015A31
	v_mul_f32_dpp v83, v49, v83 row_newbcast:11 row_mask:0xf bank_mask:0xf// 00000000973C: 0AA6A6FA FF015B31
	v_mul_f32_e32 v84, v15, v84                                // 000000009744: 0AA8A90F
	v_mul_f32_e32 v84, v21, v84                                // 000000009748: 0AA8A915
	v_mul_f32_e32 v85, v15, v85                                // 00000000974C: 0AAAAB0F
	v_mul_f32_e32 v85, v21, v85                                // 000000009750: 0AAAAB15
	v_mul_f32_e32 v86, v15, v86                                // 000000009754: 0AACAD0F
	v_mul_f32_e32 v86, v21, v86                                // 000000009758: 0AACAD15
	v_mul_f32_e32 v87, v15, v87                                // 00000000975C: 0AAEAF0F
	v_mul_f32_e32 v87, v21, v87                                // 000000009760: 0AAEAF15
	v_mul_f32_dpp v84, v49, v84 row_newbcast:8 row_mask:0xf bank_mask:0xf// 000000009764: 0AA8A8FA FF015831
	v_mul_f32_dpp v85, v49, v85 row_newbcast:9 row_mask:0xf bank_mask:0xf// 00000000976C: 0AAAAAFA FF015931
	v_mul_f32_dpp v86, v49, v86 row_newbcast:10 row_mask:0xf bank_mask:0xf// 000000009774: 0AACACFA FF015A31
	v_mul_f32_dpp v87, v49, v87 row_newbcast:11 row_mask:0xf bank_mask:0xf// 00000000977C: 0AAEAEFA FF015B31
	v_mul_f32_e32 v88, v14, v88                                // 000000009784: 0AB0B10E
	v_mul_f32_e32 v88, v20, v88                                // 000000009788: 0AB0B114
	v_mul_f32_e32 v89, v14, v89                                // 00000000978C: 0AB2B30E
	v_mul_f32_e32 v89, v20, v89                                // 000000009790: 0AB2B314
	v_mul_f32_e32 v90, v14, v90                                // 000000009794: 0AB4B50E
	v_mul_f32_e32 v90, v20, v90                                // 000000009798: 0AB4B514
	v_mul_f32_e32 v91, v14, v91                                // 00000000979C: 0AB6B70E
	v_mul_f32_e32 v91, v20, v91                                // 0000000097A0: 0AB6B714
	v_mul_f32_dpp v88, v49, v88 row_newbcast:12 row_mask:0xf bank_mask:0xf// 0000000097A4: 0AB0B0FA FF015C31
	v_mul_f32_dpp v89, v49, v89 row_newbcast:13 row_mask:0xf bank_mask:0xf// 0000000097AC: 0AB2B2FA FF015D31
	v_mul_f32_dpp v90, v49, v90 row_newbcast:14 row_mask:0xf bank_mask:0xf// 0000000097B4: 0AB4B4FA FF015E31
	v_mul_f32_dpp v91, v49, v91 row_newbcast:15 row_mask:0xf bank_mask:0xf// 0000000097BC: 0AB6B6FA FF015F31
	v_mul_f32_e32 v92, v15, v92                                // 0000000097C4: 0AB8B90F
	v_mul_f32_e32 v92, v21, v92                                // 0000000097C8: 0AB8B915
	v_mul_f32_e32 v93, v15, v93                                // 0000000097CC: 0ABABB0F
	v_mul_f32_e32 v93, v21, v93                                // 0000000097D0: 0ABABB15
	v_mul_f32_e32 v94, v15, v94                                // 0000000097D4: 0ABCBD0F
	v_mul_f32_e32 v94, v21, v94                                // 0000000097D8: 0ABCBD15
	v_mul_f32_e32 v95, v15, v95                                // 0000000097DC: 0ABEBF0F
	v_mul_f32_e32 v95, v21, v95                                // 0000000097E0: 0ABEBF15
	v_mul_f32_dpp v92, v49, v92 row_newbcast:12 row_mask:0xf bank_mask:0xf// 0000000097E4: 0AB8B8FA FF015C31
	v_mul_f32_dpp v93, v49, v93 row_newbcast:13 row_mask:0xf bank_mask:0xf// 0000000097EC: 0ABABAFA FF015D31
	v_mul_f32_dpp v94, v49, v94 row_newbcast:14 row_mask:0xf bank_mask:0xf// 0000000097F4: 0ABCBCFA FF015E31
	v_mul_f32_dpp v95, v49, v95 row_newbcast:15 row_mask:0xf bank_mask:0xf// 0000000097FC: 0ABEBEFA FF015F31
	v_mul_f32_e32 v96, v14, v96                                // 000000009804: 0AC0C10E
	v_mul_f32_e32 v96, v20, v96                                // 000000009808: 0AC0C114
	v_mul_f32_e32 v97, v14, v97                                // 00000000980C: 0AC2C30E
	v_mul_f32_e32 v97, v20, v97                                // 000000009810: 0AC2C314
	v_mul_f32_e32 v98, v14, v98                                // 000000009814: 0AC4C50E
	v_mul_f32_e32 v98, v20, v98                                // 000000009818: 0AC4C514
	v_mul_f32_e32 v99, v14, v99                                // 00000000981C: 0AC6C70E
	v_mul_f32_e32 v99, v20, v99                                // 000000009820: 0AC6C714
	v_mul_f32_dpp v96, v50, v96 row_newbcast:0 row_mask:0xf bank_mask:0xf// 000000009824: 0AC0C0FA FF015032
	v_mul_f32_dpp v97, v50, v97 row_newbcast:1 row_mask:0xf bank_mask:0xf// 00000000982C: 0AC2C2FA FF015132
	v_mul_f32_dpp v98, v50, v98 row_newbcast:2 row_mask:0xf bank_mask:0xf// 000000009834: 0AC4C4FA FF015232
	v_mul_f32_dpp v99, v50, v99 row_newbcast:3 row_mask:0xf bank_mask:0xf// 00000000983C: 0AC6C6FA FF015332
	v_mul_f32_e32 v100, v15, v100                              // 000000009844: 0AC8C90F
	v_mul_f32_e32 v100, v21, v100                              // 000000009848: 0AC8C915
	v_mul_f32_e32 v101, v15, v101                              // 00000000984C: 0ACACB0F
	v_mul_f32_e32 v101, v21, v101                              // 000000009850: 0ACACB15
	v_mul_f32_e32 v102, v15, v102                              // 000000009854: 0ACCCD0F
	v_mul_f32_e32 v102, v21, v102                              // 000000009858: 0ACCCD15
	v_mul_f32_e32 v103, v15, v103                              // 00000000985C: 0ACECF0F
	v_mul_f32_e32 v103, v21, v103                              // 000000009860: 0ACECF15
	v_mul_f32_dpp v100, v50, v100 row_newbcast:0 row_mask:0xf bank_mask:0xf// 000000009864: 0AC8C8FA FF015032
	v_mul_f32_dpp v101, v50, v101 row_newbcast:1 row_mask:0xf bank_mask:0xf// 00000000986C: 0ACACAFA FF015132
	v_mul_f32_dpp v102, v50, v102 row_newbcast:2 row_mask:0xf bank_mask:0xf// 000000009874: 0ACCCCFA FF015232
	v_mul_f32_dpp v103, v50, v103 row_newbcast:3 row_mask:0xf bank_mask:0xf// 00000000987C: 0ACECEFA FF015332
	v_mul_f32_e32 v104, v14, v104                              // 000000009884: 0AD0D10E
	v_mul_f32_e32 v104, v20, v104                              // 000000009888: 0AD0D114
	v_mul_f32_e32 v105, v14, v105                              // 00000000988C: 0AD2D30E
	v_mul_f32_e32 v105, v20, v105                              // 000000009890: 0AD2D314
	v_mul_f32_e32 v106, v14, v106                              // 000000009894: 0AD4D50E
	v_mul_f32_e32 v106, v20, v106                              // 000000009898: 0AD4D514
	v_mul_f32_e32 v107, v14, v107                              // 00000000989C: 0AD6D70E
	v_mul_f32_e32 v107, v20, v107                              // 0000000098A0: 0AD6D714
	v_mul_f32_dpp v104, v50, v104 row_newbcast:4 row_mask:0xf bank_mask:0xf// 0000000098A4: 0AD0D0FA FF015432
	v_mul_f32_dpp v105, v50, v105 row_newbcast:5 row_mask:0xf bank_mask:0xf// 0000000098AC: 0AD2D2FA FF015532
	v_mul_f32_dpp v106, v50, v106 row_newbcast:6 row_mask:0xf bank_mask:0xf// 0000000098B4: 0AD4D4FA FF015632
	v_mul_f32_dpp v107, v50, v107 row_newbcast:7 row_mask:0xf bank_mask:0xf// 0000000098BC: 0AD6D6FA FF015732
	v_mul_f32_e32 v108, v15, v108                              // 0000000098C4: 0AD8D90F
	v_mul_f32_e32 v108, v21, v108                              // 0000000098C8: 0AD8D915
	v_mul_f32_e32 v109, v15, v109                              // 0000000098CC: 0ADADB0F
	v_mul_f32_e32 v109, v21, v109                              // 0000000098D0: 0ADADB15
	v_mul_f32_e32 v110, v15, v110                              // 0000000098D4: 0ADCDD0F
	v_mul_f32_e32 v110, v21, v110                              // 0000000098D8: 0ADCDD15
	v_mul_f32_e32 v111, v15, v111                              // 0000000098DC: 0ADEDF0F
	v_mul_f32_e32 v111, v21, v111                              // 0000000098E0: 0ADEDF15
	v_mul_f32_dpp v108, v50, v108 row_newbcast:4 row_mask:0xf bank_mask:0xf// 0000000098E4: 0AD8D8FA FF015432
	v_mul_f32_dpp v109, v50, v109 row_newbcast:5 row_mask:0xf bank_mask:0xf// 0000000098EC: 0ADADAFA FF015532
	v_mul_f32_dpp v110, v50, v110 row_newbcast:6 row_mask:0xf bank_mask:0xf// 0000000098F4: 0ADCDCFA FF015632
	v_mul_f32_dpp v111, v50, v111 row_newbcast:7 row_mask:0xf bank_mask:0xf// 0000000098FC: 0ADEDEFA FF015732
	v_mul_f32_e32 v112, v14, v112                              // 000000009904: 0AE0E10E
	v_mul_f32_e32 v112, v20, v112                              // 000000009908: 0AE0E114
	v_mul_f32_e32 v113, v14, v113                              // 00000000990C: 0AE2E30E
	v_mul_f32_e32 v113, v20, v113                              // 000000009910: 0AE2E314
	v_mul_f32_e32 v114, v14, v114                              // 000000009914: 0AE4E50E
	v_mul_f32_e32 v114, v20, v114                              // 000000009918: 0AE4E514
	v_mul_f32_e32 v115, v14, v115                              // 00000000991C: 0AE6E70E
	v_mul_f32_e32 v115, v20, v115                              // 000000009920: 0AE6E714
	v_mul_f32_dpp v112, v50, v112 row_newbcast:8 row_mask:0xf bank_mask:0xf// 000000009924: 0AE0E0FA FF015832
	v_mul_f32_dpp v113, v50, v113 row_newbcast:9 row_mask:0xf bank_mask:0xf// 00000000992C: 0AE2E2FA FF015932
	v_mul_f32_dpp v114, v50, v114 row_newbcast:10 row_mask:0xf bank_mask:0xf// 000000009934: 0AE4E4FA FF015A32
	v_mul_f32_dpp v115, v50, v115 row_newbcast:11 row_mask:0xf bank_mask:0xf// 00000000993C: 0AE6E6FA FF015B32
	v_mul_f32_e32 v116, v15, v116                              // 000000009944: 0AE8E90F
	v_mul_f32_e32 v116, v21, v116                              // 000000009948: 0AE8E915
	v_mul_f32_e32 v117, v15, v117                              // 00000000994C: 0AEAEB0F
	v_mul_f32_e32 v117, v21, v117                              // 000000009950: 0AEAEB15
	v_mul_f32_e32 v118, v15, v118                              // 000000009954: 0AECED0F
	v_mul_f32_e32 v118, v21, v118                              // 000000009958: 0AECED15
	v_mul_f32_e32 v119, v15, v119                              // 00000000995C: 0AEEEF0F
	v_mul_f32_e32 v119, v21, v119                              // 000000009960: 0AEEEF15
	v_mul_f32_dpp v116, v50, v116 row_newbcast:8 row_mask:0xf bank_mask:0xf// 000000009964: 0AE8E8FA FF015832
	v_mul_f32_dpp v117, v50, v117 row_newbcast:9 row_mask:0xf bank_mask:0xf// 00000000996C: 0AEAEAFA FF015932
	v_mul_f32_dpp v118, v50, v118 row_newbcast:10 row_mask:0xf bank_mask:0xf// 000000009974: 0AECECFA FF015A32
	v_mul_f32_dpp v119, v50, v119 row_newbcast:11 row_mask:0xf bank_mask:0xf// 00000000997C: 0AEEEEFA FF015B32
	s_waitcnt vmcnt(24)                                        // 000000009984: BF8C4F78
	buffer_load_dwordx4 a[0:3], v41, s[12:15], 0 offen         // 000000009988: E05C1000 80830029
	v_mul_f32_e32 v52, v128, v128                              // 000000009990: 0A690180
	v_mul_f32_e32 v53, v129, v129                              // 000000009994: 0A6B0381
	v_mul_f32_e32 v54, v130, v130                              // 000000009998: 0A6D0582
	v_mul_f32_e32 v55, v131, v131                              // 00000000999C: 0A6F0783
	v_fma_f32 v52, v52, s77, v1                                // 0000000099A0: D1CB0034 04049B34
	v_fma_f32 v53, v53, s77, v1                                // 0000000099A8: D1CB0035 04049B35
	v_fma_f32 v54, v54, s77, v1                                // 0000000099B0: D1CB0036 04049B36
	v_fma_f32 v55, v55, s77, v1                                // 0000000099B8: D1CB0037 04049B37
	v_mul_f32_e32 v52, v52, v128                               // 0000000099C0: 0A690134
	v_mul_f32_e32 v53, v53, v129                               // 0000000099C4: 0A6B0335
	v_mul_f32_e32 v54, v54, v130                               // 0000000099C8: 0A6D0536
	v_mul_f32_e32 v55, v55, v131                               // 0000000099CC: 0A6F0737
	v_mul_f32_e64 v52, v52, s6                                 // 0000000099D0: D1050034 00000D34
	v_mul_f32_e64 v53, v53, s6                                 // 0000000099D8: D1050035 00000D35
	v_mul_f32_e64 v54, v54, s6                                 // 0000000099E0: D1050036 00000D36
	v_mul_f32_e64 v55, v55, s6                                 // 0000000099E8: D1050037 00000D37
	v_exp_f32_e32 v52, v52                                     // 0000000099F0: 7E684134
	v_exp_f32_e32 v53, v53                                     // 0000000099F4: 7E6A4135
	v_exp_f32_e32 v54, v54                                     // 0000000099F8: 7E6C4136
	v_exp_f32_e32 v55, v55                                     // 0000000099FC: 7E6E4137
	buffer_load_dwordx4 a[4:7], v42, s[12:15], 0 offen         // 000000009A00: E05C1000 8083042A
	v_add_f32_e64 v52, v52, 1.0                                // 000000009A08: D1010034 0001E534
	v_add_f32_e64 v53, v53, 1.0                                // 000000009A10: D1010035 0001E535
	v_add_f32_e64 v54, v54, 1.0                                // 000000009A18: D1010036 0001E536
	v_add_f32_e64 v55, v55, 1.0                                // 000000009A20: D1010037 0001E537
	v_rcp_f32_e32 v52, v52                                     // 000000009A28: 7E684534
	v_rcp_f32_e32 v53, v53                                     // 000000009A2C: 7E6A4535
	v_rcp_f32_e32 v54, v54                                     // 000000009A30: 7E6C4536
	v_rcp_f32_e32 v55, v55                                     // 000000009A34: 7E6E4537
	v_mul_f32_e32 v128, v128, v52                              // 000000009A38: 0B006980
	v_mul_f32_e32 v129, v129, v53                              // 000000009A3C: 0B026B81
	v_mul_f32_e32 v130, v130, v54                              // 000000009A40: 0B046D82
	v_mul_f32_e32 v131, v131, v55                              // 000000009A44: 0B066F83
	v_mul_f32_e32 v128, v128, v64                              // 000000009A48: 0B008180
	v_mul_f32_e32 v129, v129, v65                              // 000000009A4C: 0B028381
	v_mul_f32_e32 v130, v130, v66                              // 000000009A50: 0B048582
	v_mul_f32_e32 v131, v131, v67                              // 000000009A54: 0B068783
	buffer_load_dwordx4 a[8:11], v43, s[12:15], 0 offen        // 000000009A58: E05C1000 8083082B
	v_mul_f32_e32 v52, v132, v132                              // 000000009A60: 0A690984
	v_mul_f32_e32 v53, v133, v133                              // 000000009A64: 0A6B0B85
	v_mul_f32_e32 v54, v134, v134                              // 000000009A68: 0A6D0D86
	v_mul_f32_e32 v55, v135, v135                              // 000000009A6C: 0A6F0F87
	v_fma_f32 v52, v52, s77, v1                                // 000000009A70: D1CB0034 04049B34
	v_fma_f32 v53, v53, s77, v1                                // 000000009A78: D1CB0035 04049B35
	v_fma_f32 v54, v54, s77, v1                                // 000000009A80: D1CB0036 04049B36
	v_fma_f32 v55, v55, s77, v1                                // 000000009A88: D1CB0037 04049B37
	v_mul_f32_e32 v52, v52, v132                               // 000000009A90: 0A690934
	v_mul_f32_e32 v53, v53, v133                               // 000000009A94: 0A6B0B35
	v_mul_f32_e32 v54, v54, v134                               // 000000009A98: 0A6D0D36
	v_mul_f32_e32 v55, v55, v135                               // 000000009A9C: 0A6F0F37
	v_mul_f32_e64 v52, v52, s6                                 // 000000009AA0: D1050034 00000D34
	v_mul_f32_e64 v53, v53, s6                                 // 000000009AA8: D1050035 00000D35
	v_mul_f32_e64 v54, v54, s6                                 // 000000009AB0: D1050036 00000D36
	v_mul_f32_e64 v55, v55, s6                                 // 000000009AB8: D1050037 00000D37
	v_exp_f32_e32 v52, v52                                     // 000000009AC0: 7E684134
	v_exp_f32_e32 v53, v53                                     // 000000009AC4: 7E6A4135
	v_exp_f32_e32 v54, v54                                     // 000000009AC8: 7E6C4136
	v_exp_f32_e32 v55, v55                                     // 000000009ACC: 7E6E4137
	buffer_load_dwordx4 a[12:15], v44, s[12:15], 0 offen       // 000000009AD0: E05C1000 80830C2C
	s_add_u32 s12, s78, s12                                    // 000000009AD8: 800C0C4E
	s_addc_u32 s13, 0, s13                                     // 000000009ADC: 820D0D80
	v_add_f32_e64 v52, v52, 1.0                                // 000000009AE0: D1010034 0001E534
	v_add_f32_e64 v53, v53, 1.0                                // 000000009AE8: D1010035 0001E535
	v_add_f32_e64 v54, v54, 1.0                                // 000000009AF0: D1010036 0001E536
	v_add_f32_e64 v55, v55, 1.0                                // 000000009AF8: D1010037 0001E537
	v_rcp_f32_e32 v52, v52                                     // 000000009B00: 7E684534
	v_rcp_f32_e32 v53, v53                                     // 000000009B04: 7E6A4535
	v_rcp_f32_e32 v54, v54                                     // 000000009B08: 7E6C4536
	v_rcp_f32_e32 v55, v55                                     // 000000009B0C: 7E6E4537
	v_mul_f32_e32 v132, v132, v52                              // 000000009B10: 0B086984
	v_mul_f32_e32 v133, v133, v53                              // 000000009B14: 0B0A6B85
	v_mul_f32_e32 v134, v134, v54                              // 000000009B18: 0B0C6D86
	v_mul_f32_e32 v135, v135, v55                              // 000000009B1C: 0B0E6F87
	v_mul_f32_e32 v132, v132, v68                              // 000000009B20: 0B088984
	v_mul_f32_e32 v133, v133, v69                              // 000000009B24: 0B0A8B85
	v_mul_f32_e32 v134, v134, v70                              // 000000009B28: 0B0C8D86
	v_mul_f32_e32 v135, v135, v71                              // 000000009B2C: 0B0E8F87
	s_waitcnt vmcnt(24)                                        // 000000009B30: BF8C4F78
	buffer_load_dwordx4 a[16:19], v41, s[12:15], 0 offen       // 000000009B34: E05C1000 80831029
	v_mul_f32_e32 v52, v136, v136                              // 000000009B3C: 0A691188
	v_mul_f32_e32 v53, v137, v137                              // 000000009B40: 0A6B1389
	v_mul_f32_e32 v54, v138, v138                              // 000000009B44: 0A6D158A
	v_mul_f32_e32 v55, v139, v139                              // 000000009B48: 0A6F178B
	v_fma_f32 v52, v52, s77, v1                                // 000000009B4C: D1CB0034 04049B34
	v_fma_f32 v53, v53, s77, v1                                // 000000009B54: D1CB0035 04049B35
	v_fma_f32 v54, v54, s77, v1                                // 000000009B5C: D1CB0036 04049B36
	v_fma_f32 v55, v55, s77, v1                                // 000000009B64: D1CB0037 04049B37
	v_mul_f32_e32 v52, v52, v136                               // 000000009B6C: 0A691134
	v_mul_f32_e32 v53, v53, v137                               // 000000009B70: 0A6B1335
	v_mul_f32_e32 v54, v54, v138                               // 000000009B74: 0A6D1536
	v_mul_f32_e32 v55, v55, v139                               // 000000009B78: 0A6F1737
	v_mul_f32_e64 v52, v52, s6                                 // 000000009B7C: D1050034 00000D34
	v_mul_f32_e64 v53, v53, s6                                 // 000000009B84: D1050035 00000D35
	v_mul_f32_e64 v54, v54, s6                                 // 000000009B8C: D1050036 00000D36
	v_mul_f32_e64 v55, v55, s6                                 // 000000009B94: D1050037 00000D37
	v_exp_f32_e32 v52, v52                                     // 000000009B9C: 7E684134
	v_exp_f32_e32 v53, v53                                     // 000000009BA0: 7E6A4135
	v_exp_f32_e32 v54, v54                                     // 000000009BA4: 7E6C4136
	v_exp_f32_e32 v55, v55                                     // 000000009BA8: 7E6E4137
	buffer_load_dwordx4 a[20:23], v42, s[12:15], 0 offen       // 000000009BAC: E05C1000 8083142A
	v_add_f32_e64 v52, v52, 1.0                                // 000000009BB4: D1010034 0001E534
	v_add_f32_e64 v53, v53, 1.0                                // 000000009BBC: D1010035 0001E535
	v_add_f32_e64 v54, v54, 1.0                                // 000000009BC4: D1010036 0001E536
	v_add_f32_e64 v55, v55, 1.0                                // 000000009BCC: D1010037 0001E537
	v_rcp_f32_e32 v52, v52                                     // 000000009BD4: 7E684534
	v_rcp_f32_e32 v53, v53                                     // 000000009BD8: 7E6A4535
	v_rcp_f32_e32 v54, v54                                     // 000000009BDC: 7E6C4536
	v_rcp_f32_e32 v55, v55                                     // 000000009BE0: 7E6E4537
	v_mul_f32_e32 v136, v136, v52                              // 000000009BE4: 0B106988
	v_mul_f32_e32 v137, v137, v53                              // 000000009BE8: 0B126B89
	v_mul_f32_e32 v138, v138, v54                              // 000000009BEC: 0B146D8A
	v_mul_f32_e32 v139, v139, v55                              // 000000009BF0: 0B166F8B
	v_mul_f32_e32 v136, v136, v72                              // 000000009BF4: 0B109188
	v_mul_f32_e32 v137, v137, v73                              // 000000009BF8: 0B129389
	v_mul_f32_e32 v138, v138, v74                              // 000000009BFC: 0B14958A
	v_mul_f32_e32 v139, v139, v75                              // 000000009C00: 0B16978B
	buffer_load_dwordx4 a[24:27], v43, s[12:15], 0 offen       // 000000009C04: E05C1000 8083182B
	v_mul_f32_e32 v52, v140, v140                              // 000000009C0C: 0A69198C
	v_mul_f32_e32 v53, v141, v141                              // 000000009C10: 0A6B1B8D
	v_mul_f32_e32 v54, v142, v142                              // 000000009C14: 0A6D1D8E
	v_mul_f32_e32 v55, v143, v143                              // 000000009C18: 0A6F1F8F
	v_fma_f32 v52, v52, s77, v1                                // 000000009C1C: D1CB0034 04049B34
	v_fma_f32 v53, v53, s77, v1                                // 000000009C24: D1CB0035 04049B35
	v_fma_f32 v54, v54, s77, v1                                // 000000009C2C: D1CB0036 04049B36
	v_fma_f32 v55, v55, s77, v1                                // 000000009C34: D1CB0037 04049B37
	v_mul_f32_e32 v52, v52, v140                               // 000000009C3C: 0A691934
	v_mul_f32_e32 v53, v53, v141                               // 000000009C40: 0A6B1B35
	v_mul_f32_e32 v54, v54, v142                               // 000000009C44: 0A6D1D36
	v_mul_f32_e32 v55, v55, v143                               // 000000009C48: 0A6F1F37
	v_mul_f32_e64 v52, v52, s6                                 // 000000009C4C: D1050034 00000D34
	v_mul_f32_e64 v53, v53, s6                                 // 000000009C54: D1050035 00000D35
	v_mul_f32_e64 v54, v54, s6                                 // 000000009C5C: D1050036 00000D36
	v_mul_f32_e64 v55, v55, s6                                 // 000000009C64: D1050037 00000D37
	v_exp_f32_e32 v52, v52                                     // 000000009C6C: 7E684134
	v_exp_f32_e32 v53, v53                                     // 000000009C70: 7E6A4135
	v_exp_f32_e32 v54, v54                                     // 000000009C74: 7E6C4136
	v_exp_f32_e32 v55, v55                                     // 000000009C78: 7E6E4137
	buffer_load_dwordx4 a[28:31], v44, s[12:15], 0 offen       // 000000009C7C: E05C1000 80831C2C
	s_add_u32 s12, s78, s12                                    // 000000009C84: 800C0C4E
	s_addc_u32 s13, 0, s13                                     // 000000009C88: 820D0D80
	v_add_f32_e64 v52, v52, 1.0                                // 000000009C8C: D1010034 0001E534
	v_add_f32_e64 v53, v53, 1.0                                // 000000009C94: D1010035 0001E535
	v_add_f32_e64 v54, v54, 1.0                                // 000000009C9C: D1010036 0001E536
	v_add_f32_e64 v55, v55, 1.0                                // 000000009CA4: D1010037 0001E537
	v_rcp_f32_e32 v52, v52                                     // 000000009CAC: 7E684534
	v_rcp_f32_e32 v53, v53                                     // 000000009CB0: 7E6A4535
	v_rcp_f32_e32 v54, v54                                     // 000000009CB4: 7E6C4536
	v_rcp_f32_e32 v55, v55                                     // 000000009CB8: 7E6E4537
	v_mul_f32_e32 v140, v140, v52                              // 000000009CBC: 0B18698C
	v_mul_f32_e32 v141, v141, v53                              // 000000009CC0: 0B1A6B8D
	v_mul_f32_e32 v142, v142, v54                              // 000000009CC4: 0B1C6D8E
	v_mul_f32_e32 v143, v143, v55                              // 000000009CC8: 0B1E6F8F
	v_mul_f32_e32 v140, v140, v76                              // 000000009CCC: 0B18998C
	v_mul_f32_e32 v141, v141, v77                              // 000000009CD0: 0B1A9B8D
	v_mul_f32_e32 v142, v142, v78                              // 000000009CD4: 0B1C9D8E
	v_mul_f32_e32 v143, v143, v79                              // 000000009CD8: 0B1E9F8F
	s_waitcnt vmcnt(24)                                        // 000000009CDC: BF8C4F78
	buffer_load_dwordx4 a[32:35], v41, s[12:15], 0 offen       // 000000009CE0: E05C1000 80832029
	v_mul_f32_e32 v52, v144, v144                              // 000000009CE8: 0A692190
	v_mul_f32_e32 v53, v145, v145                              // 000000009CEC: 0A6B2391
	v_mul_f32_e32 v54, v146, v146                              // 000000009CF0: 0A6D2592
	v_mul_f32_e32 v55, v147, v147                              // 000000009CF4: 0A6F2793
	v_fma_f32 v52, v52, s77, v1                                // 000000009CF8: D1CB0034 04049B34
	v_fma_f32 v53, v53, s77, v1                                // 000000009D00: D1CB0035 04049B35
	v_fma_f32 v54, v54, s77, v1                                // 000000009D08: D1CB0036 04049B36
	v_fma_f32 v55, v55, s77, v1                                // 000000009D10: D1CB0037 04049B37
	v_mul_f32_e32 v52, v52, v144                               // 000000009D18: 0A692134
	v_mul_f32_e32 v53, v53, v145                               // 000000009D1C: 0A6B2335
	v_mul_f32_e32 v54, v54, v146                               // 000000009D20: 0A6D2536
	v_mul_f32_e32 v55, v55, v147                               // 000000009D24: 0A6F2737
	v_mul_f32_e64 v52, v52, s6                                 // 000000009D28: D1050034 00000D34
	v_mul_f32_e64 v53, v53, s6                                 // 000000009D30: D1050035 00000D35
	v_mul_f32_e64 v54, v54, s6                                 // 000000009D38: D1050036 00000D36
	v_mul_f32_e64 v55, v55, s6                                 // 000000009D40: D1050037 00000D37
	v_exp_f32_e32 v52, v52                                     // 000000009D48: 7E684134
	v_exp_f32_e32 v53, v53                                     // 000000009D4C: 7E6A4135
	v_exp_f32_e32 v54, v54                                     // 000000009D50: 7E6C4136
	v_exp_f32_e32 v55, v55                                     // 000000009D54: 7E6E4137
	buffer_load_dwordx4 a[36:39], v42, s[12:15], 0 offen       // 000000009D58: E05C1000 8083242A
	v_add_f32_e64 v52, v52, 1.0                                // 000000009D60: D1010034 0001E534
	v_add_f32_e64 v53, v53, 1.0                                // 000000009D68: D1010035 0001E535
	v_add_f32_e64 v54, v54, 1.0                                // 000000009D70: D1010036 0001E536
	v_add_f32_e64 v55, v55, 1.0                                // 000000009D78: D1010037 0001E537
	v_rcp_f32_e32 v52, v52                                     // 000000009D80: 7E684534
	v_rcp_f32_e32 v53, v53                                     // 000000009D84: 7E6A4535
	v_rcp_f32_e32 v54, v54                                     // 000000009D88: 7E6C4536
	v_rcp_f32_e32 v55, v55                                     // 000000009D8C: 7E6E4537
	v_mul_f32_e32 v144, v144, v52                              // 000000009D90: 0B206990
	v_mul_f32_e32 v145, v145, v53                              // 000000009D94: 0B226B91
	v_mul_f32_e32 v146, v146, v54                              // 000000009D98: 0B246D92
	v_mul_f32_e32 v147, v147, v55                              // 000000009D9C: 0B266F93
	v_mul_f32_e32 v144, v144, v80                              // 000000009DA0: 0B20A190
	v_mul_f32_e32 v145, v145, v81                              // 000000009DA4: 0B22A391
	v_mul_f32_e32 v146, v146, v82                              // 000000009DA8: 0B24A592
	v_mul_f32_e32 v147, v147, v83                              // 000000009DAC: 0B26A793
	buffer_load_dwordx4 a[40:43], v43, s[12:15], 0 offen       // 000000009DB0: E05C1000 8083282B
	v_mul_f32_e32 v52, v148, v148                              // 000000009DB8: 0A692994
	v_mul_f32_e32 v53, v149, v149                              // 000000009DBC: 0A6B2B95
	v_mul_f32_e32 v54, v150, v150                              // 000000009DC0: 0A6D2D96
	v_mul_f32_e32 v55, v151, v151                              // 000000009DC4: 0A6F2F97
	v_fma_f32 v52, v52, s77, v1                                // 000000009DC8: D1CB0034 04049B34
	v_fma_f32 v53, v53, s77, v1                                // 000000009DD0: D1CB0035 04049B35
	v_fma_f32 v54, v54, s77, v1                                // 000000009DD8: D1CB0036 04049B36
	v_fma_f32 v55, v55, s77, v1                                // 000000009DE0: D1CB0037 04049B37
	v_mul_f32_e32 v52, v52, v148                               // 000000009DE8: 0A692934
	v_mul_f32_e32 v53, v53, v149                               // 000000009DEC: 0A6B2B35
	v_mul_f32_e32 v54, v54, v150                               // 000000009DF0: 0A6D2D36
	v_mul_f32_e32 v55, v55, v151                               // 000000009DF4: 0A6F2F37
	v_mul_f32_e64 v52, v52, s6                                 // 000000009DF8: D1050034 00000D34
	v_mul_f32_e64 v53, v53, s6                                 // 000000009E00: D1050035 00000D35
	v_mul_f32_e64 v54, v54, s6                                 // 000000009E08: D1050036 00000D36
	v_mul_f32_e64 v55, v55, s6                                 // 000000009E10: D1050037 00000D37
	v_exp_f32_e32 v52, v52                                     // 000000009E18: 7E684134
	v_exp_f32_e32 v53, v53                                     // 000000009E1C: 7E6A4135
	v_exp_f32_e32 v54, v54                                     // 000000009E20: 7E6C4136
	v_exp_f32_e32 v55, v55                                     // 000000009E24: 7E6E4137
	buffer_load_dwordx4 a[44:47], v44, s[12:15], 0 offen       // 000000009E28: E05C1000 80832C2C
	s_add_u32 s12, s78, s12                                    // 000000009E30: 800C0C4E
	s_addc_u32 s13, 0, s13                                     // 000000009E34: 820D0D80
	v_add_f32_e64 v52, v52, 1.0                                // 000000009E38: D1010034 0001E534
	v_add_f32_e64 v53, v53, 1.0                                // 000000009E40: D1010035 0001E535
	v_add_f32_e64 v54, v54, 1.0                                // 000000009E48: D1010036 0001E536
	v_add_f32_e64 v55, v55, 1.0                                // 000000009E50: D1010037 0001E537
	v_rcp_f32_e32 v52, v52                                     // 000000009E58: 7E684534
	v_rcp_f32_e32 v53, v53                                     // 000000009E5C: 7E6A4535
	v_rcp_f32_e32 v54, v54                                     // 000000009E60: 7E6C4536
	v_rcp_f32_e32 v55, v55                                     // 000000009E64: 7E6E4537
	v_mul_f32_e32 v148, v148, v52                              // 000000009E68: 0B286994
	v_mul_f32_e32 v149, v149, v53                              // 000000009E6C: 0B2A6B95
	v_mul_f32_e32 v150, v150, v54                              // 000000009E70: 0B2C6D96
	v_mul_f32_e32 v151, v151, v55                              // 000000009E74: 0B2E6F97
	v_mul_f32_e32 v148, v148, v84                              // 000000009E78: 0B28A994
	v_mul_f32_e32 v149, v149, v85                              // 000000009E7C: 0B2AAB95
	v_mul_f32_e32 v150, v150, v86                              // 000000009E80: 0B2CAD96
	v_mul_f32_e32 v151, v151, v87                              // 000000009E84: 0B2EAF97
	s_waitcnt vmcnt(24)                                        // 000000009E88: BF8C4F78
	buffer_load_dwordx4 a[48:51], v41, s[12:15], 0 offen       // 000000009E8C: E05C1000 80833029
	v_mul_f32_e32 v52, v152, v152                              // 000000009E94: 0A693198
	v_mul_f32_e32 v53, v153, v153                              // 000000009E98: 0A6B3399
	v_mul_f32_e32 v54, v154, v154                              // 000000009E9C: 0A6D359A
	v_mul_f32_e32 v55, v155, v155                              // 000000009EA0: 0A6F379B
	v_fma_f32 v52, v52, s77, v1                                // 000000009EA4: D1CB0034 04049B34
	v_fma_f32 v53, v53, s77, v1                                // 000000009EAC: D1CB0035 04049B35
	v_fma_f32 v54, v54, s77, v1                                // 000000009EB4: D1CB0036 04049B36
	v_fma_f32 v55, v55, s77, v1                                // 000000009EBC: D1CB0037 04049B37
	v_mul_f32_e32 v52, v52, v152                               // 000000009EC4: 0A693134
	v_mul_f32_e32 v53, v53, v153                               // 000000009EC8: 0A6B3335
	v_mul_f32_e32 v54, v54, v154                               // 000000009ECC: 0A6D3536
	v_mul_f32_e32 v55, v55, v155                               // 000000009ED0: 0A6F3737
	v_mul_f32_e64 v52, v52, s6                                 // 000000009ED4: D1050034 00000D34
	v_mul_f32_e64 v53, v53, s6                                 // 000000009EDC: D1050035 00000D35
	v_mul_f32_e64 v54, v54, s6                                 // 000000009EE4: D1050036 00000D36
	v_mul_f32_e64 v55, v55, s6                                 // 000000009EEC: D1050037 00000D37
	v_exp_f32_e32 v52, v52                                     // 000000009EF4: 7E684134
	v_exp_f32_e32 v53, v53                                     // 000000009EF8: 7E6A4135
	v_exp_f32_e32 v54, v54                                     // 000000009EFC: 7E6C4136
	v_exp_f32_e32 v55, v55                                     // 000000009F00: 7E6E4137
	buffer_load_dwordx4 a[52:55], v42, s[12:15], 0 offen       // 000000009F04: E05C1000 8083342A
	v_add_f32_e64 v52, v52, 1.0                                // 000000009F0C: D1010034 0001E534
	v_add_f32_e64 v53, v53, 1.0                                // 000000009F14: D1010035 0001E535
	v_add_f32_e64 v54, v54, 1.0                                // 000000009F1C: D1010036 0001E536
	v_add_f32_e64 v55, v55, 1.0                                // 000000009F24: D1010037 0001E537
	v_rcp_f32_e32 v52, v52                                     // 000000009F2C: 7E684534
	v_rcp_f32_e32 v53, v53                                     // 000000009F30: 7E6A4535
	v_rcp_f32_e32 v54, v54                                     // 000000009F34: 7E6C4536
	v_rcp_f32_e32 v55, v55                                     // 000000009F38: 7E6E4537
	v_mul_f32_e32 v152, v152, v52                              // 000000009F3C: 0B306998
	v_mul_f32_e32 v153, v153, v53                              // 000000009F40: 0B326B99
	v_mul_f32_e32 v154, v154, v54                              // 000000009F44: 0B346D9A
	v_mul_f32_e32 v155, v155, v55                              // 000000009F48: 0B366F9B
	v_mul_f32_e32 v152, v152, v88                              // 000000009F4C: 0B30B198
	v_mul_f32_e32 v153, v153, v89                              // 000000009F50: 0B32B399
	v_mul_f32_e32 v154, v154, v90                              // 000000009F54: 0B34B59A
	v_mul_f32_e32 v155, v155, v91                              // 000000009F58: 0B36B79B
	buffer_load_dwordx4 a[56:59], v43, s[12:15], 0 offen       // 000000009F5C: E05C1000 8083382B
	v_mul_f32_e32 v52, v156, v156                              // 000000009F64: 0A69399C
	v_mul_f32_e32 v53, v157, v157                              // 000000009F68: 0A6B3B9D
	v_mul_f32_e32 v54, v158, v158                              // 000000009F6C: 0A6D3D9E
	v_mul_f32_e32 v55, v159, v159                              // 000000009F70: 0A6F3F9F
	v_fma_f32 v52, v52, s77, v1                                // 000000009F74: D1CB0034 04049B34
	v_fma_f32 v53, v53, s77, v1                                // 000000009F7C: D1CB0035 04049B35
	v_fma_f32 v54, v54, s77, v1                                // 000000009F84: D1CB0036 04049B36
	v_fma_f32 v55, v55, s77, v1                                // 000000009F8C: D1CB0037 04049B37
	v_mul_f32_e32 v52, v52, v156                               // 000000009F94: 0A693934
	v_mul_f32_e32 v53, v53, v157                               // 000000009F98: 0A6B3B35
	v_mul_f32_e32 v54, v54, v158                               // 000000009F9C: 0A6D3D36
	v_mul_f32_e32 v55, v55, v159                               // 000000009FA0: 0A6F3F37
	v_mul_f32_e64 v52, v52, s6                                 // 000000009FA4: D1050034 00000D34
	v_mul_f32_e64 v53, v53, s6                                 // 000000009FAC: D1050035 00000D35
	v_mul_f32_e64 v54, v54, s6                                 // 000000009FB4: D1050036 00000D36
	v_mul_f32_e64 v55, v55, s6                                 // 000000009FBC: D1050037 00000D37
	v_exp_f32_e32 v52, v52                                     // 000000009FC4: 7E684134
	v_exp_f32_e32 v53, v53                                     // 000000009FC8: 7E6A4135
	v_exp_f32_e32 v54, v54                                     // 000000009FCC: 7E6C4136
	v_exp_f32_e32 v55, v55                                     // 000000009FD0: 7E6E4137
	buffer_load_dwordx4 a[60:63], v44, s[12:15], 0 offen       // 000000009FD4: E05C1000 80833C2C
	s_add_u32 s12, s78, s12                                    // 000000009FDC: 800C0C4E
	s_addc_u32 s13, 0, s13                                     // 000000009FE0: 820D0D80
	v_add_f32_e64 v52, v52, 1.0                                // 000000009FE4: D1010034 0001E534
	v_add_f32_e64 v53, v53, 1.0                                // 000000009FEC: D1010035 0001E535
	v_add_f32_e64 v54, v54, 1.0                                // 000000009FF4: D1010036 0001E536
	v_add_f32_e64 v55, v55, 1.0                                // 000000009FFC: D1010037 0001E537
	v_rcp_f32_e32 v52, v52                                     // 00000000A004: 7E684534
	v_rcp_f32_e32 v53, v53                                     // 00000000A008: 7E6A4535
	v_rcp_f32_e32 v54, v54                                     // 00000000A00C: 7E6C4536
	v_rcp_f32_e32 v55, v55                                     // 00000000A010: 7E6E4537
	v_mul_f32_e32 v156, v156, v52                              // 00000000A014: 0B38699C
	v_mul_f32_e32 v157, v157, v53                              // 00000000A018: 0B3A6B9D
	v_mul_f32_e32 v158, v158, v54                              // 00000000A01C: 0B3C6D9E
	v_mul_f32_e32 v159, v159, v55                              // 00000000A020: 0B3E6F9F
	v_mul_f32_e32 v156, v156, v92                              // 00000000A024: 0B38B99C
	v_mul_f32_e32 v157, v157, v93                              // 00000000A028: 0B3ABB9D
	v_mul_f32_e32 v158, v158, v94                              // 00000000A02C: 0B3CBD9E
	v_mul_f32_e32 v159, v159, v95                              // 00000000A030: 0B3EBF9F
	s_waitcnt vmcnt(24)                                        // 00000000A034: BF8C4F78
	buffer_load_dwordx4 a[64:67], v41, s[12:15], 0 offen       // 00000000A038: E05C1000 80834029
	v_mul_f32_e32 v52, v160, v160                              // 00000000A040: 0A6941A0
	v_mul_f32_e32 v53, v161, v161                              // 00000000A044: 0A6B43A1
	v_mul_f32_e32 v54, v162, v162                              // 00000000A048: 0A6D45A2
	v_mul_f32_e32 v55, v163, v163                              // 00000000A04C: 0A6F47A3
	v_fma_f32 v52, v52, s77, v1                                // 00000000A050: D1CB0034 04049B34
	v_fma_f32 v53, v53, s77, v1                                // 00000000A058: D1CB0035 04049B35
	v_fma_f32 v54, v54, s77, v1                                // 00000000A060: D1CB0036 04049B36
	v_fma_f32 v55, v55, s77, v1                                // 00000000A068: D1CB0037 04049B37
	v_mul_f32_e32 v52, v52, v160                               // 00000000A070: 0A694134
	v_mul_f32_e32 v53, v53, v161                               // 00000000A074: 0A6B4335
	v_mul_f32_e32 v54, v54, v162                               // 00000000A078: 0A6D4536
	v_mul_f32_e32 v55, v55, v163                               // 00000000A07C: 0A6F4737
	v_mul_f32_e64 v52, v52, s6                                 // 00000000A080: D1050034 00000D34
	v_mul_f32_e64 v53, v53, s6                                 // 00000000A088: D1050035 00000D35
	v_mul_f32_e64 v54, v54, s6                                 // 00000000A090: D1050036 00000D36
	v_mul_f32_e64 v55, v55, s6                                 // 00000000A098: D1050037 00000D37
	v_exp_f32_e32 v52, v52                                     // 00000000A0A0: 7E684134
	v_exp_f32_e32 v53, v53                                     // 00000000A0A4: 7E6A4135
	v_exp_f32_e32 v54, v54                                     // 00000000A0A8: 7E6C4136
	v_exp_f32_e32 v55, v55                                     // 00000000A0AC: 7E6E4137
	buffer_load_dwordx4 a[68:71], v42, s[12:15], 0 offen       // 00000000A0B0: E05C1000 8083442A
	v_add_f32_e64 v52, v52, 1.0                                // 00000000A0B8: D1010034 0001E534
	v_add_f32_e64 v53, v53, 1.0                                // 00000000A0C0: D1010035 0001E535
	v_add_f32_e64 v54, v54, 1.0                                // 00000000A0C8: D1010036 0001E536
	v_add_f32_e64 v55, v55, 1.0                                // 00000000A0D0: D1010037 0001E537
	v_rcp_f32_e32 v52, v52                                     // 00000000A0D8: 7E684534
	v_rcp_f32_e32 v53, v53                                     // 00000000A0DC: 7E6A4535
	v_rcp_f32_e32 v54, v54                                     // 00000000A0E0: 7E6C4536
	v_rcp_f32_e32 v55, v55                                     // 00000000A0E4: 7E6E4537
	v_mul_f32_e32 v160, v160, v52                              // 00000000A0E8: 0B4069A0
	v_mul_f32_e32 v161, v161, v53                              // 00000000A0EC: 0B426BA1
	v_mul_f32_e32 v162, v162, v54                              // 00000000A0F0: 0B446DA2
	v_mul_f32_e32 v163, v163, v55                              // 00000000A0F4: 0B466FA3
	v_mul_f32_e32 v160, v160, v96                              // 00000000A0F8: 0B40C1A0
	v_mul_f32_e32 v161, v161, v97                              // 00000000A0FC: 0B42C3A1
	v_mul_f32_e32 v162, v162, v98                              // 00000000A100: 0B44C5A2
	v_mul_f32_e32 v163, v163, v99                              // 00000000A104: 0B46C7A3
	buffer_load_dwordx4 a[72:75], v43, s[12:15], 0 offen       // 00000000A108: E05C1000 8083482B
	v_mul_f32_e32 v52, v164, v164                              // 00000000A110: 0A6949A4
	v_mul_f32_e32 v53, v165, v165                              // 00000000A114: 0A6B4BA5
	v_mul_f32_e32 v54, v166, v166                              // 00000000A118: 0A6D4DA6
	v_mul_f32_e32 v55, v167, v167                              // 00000000A11C: 0A6F4FA7
	v_fma_f32 v52, v52, s77, v1                                // 00000000A120: D1CB0034 04049B34
	v_fma_f32 v53, v53, s77, v1                                // 00000000A128: D1CB0035 04049B35
	v_fma_f32 v54, v54, s77, v1                                // 00000000A130: D1CB0036 04049B36
	v_fma_f32 v55, v55, s77, v1                                // 00000000A138: D1CB0037 04049B37
	v_mul_f32_e32 v52, v52, v164                               // 00000000A140: 0A694934
	v_mul_f32_e32 v53, v53, v165                               // 00000000A144: 0A6B4B35
	v_mul_f32_e32 v54, v54, v166                               // 00000000A148: 0A6D4D36
	v_mul_f32_e32 v55, v55, v167                               // 00000000A14C: 0A6F4F37
	v_mul_f32_e64 v52, v52, s6                                 // 00000000A150: D1050034 00000D34
	v_mul_f32_e64 v53, v53, s6                                 // 00000000A158: D1050035 00000D35
	v_mul_f32_e64 v54, v54, s6                                 // 00000000A160: D1050036 00000D36
	v_mul_f32_e64 v55, v55, s6                                 // 00000000A168: D1050037 00000D37
	v_exp_f32_e32 v52, v52                                     // 00000000A170: 7E684134
	v_exp_f32_e32 v53, v53                                     // 00000000A174: 7E6A4135
	v_exp_f32_e32 v54, v54                                     // 00000000A178: 7E6C4136
	v_exp_f32_e32 v55, v55                                     // 00000000A17C: 7E6E4137
	buffer_load_dwordx4 a[76:79], v44, s[12:15], 0 offen       // 00000000A180: E05C1000 80834C2C
	s_add_u32 s12, s78, s12                                    // 00000000A188: 800C0C4E
	s_addc_u32 s13, 0, s13                                     // 00000000A18C: 820D0D80
	v_add_f32_e64 v52, v52, 1.0                                // 00000000A190: D1010034 0001E534
	v_add_f32_e64 v53, v53, 1.0                                // 00000000A198: D1010035 0001E535
	v_add_f32_e64 v54, v54, 1.0                                // 00000000A1A0: D1010036 0001E536
	v_add_f32_e64 v55, v55, 1.0                                // 00000000A1A8: D1010037 0001E537
	v_rcp_f32_e32 v52, v52                                     // 00000000A1B0: 7E684534
	v_rcp_f32_e32 v53, v53                                     // 00000000A1B4: 7E6A4535
	v_rcp_f32_e32 v54, v54                                     // 00000000A1B8: 7E6C4536
	v_rcp_f32_e32 v55, v55                                     // 00000000A1BC: 7E6E4537
	v_mul_f32_e32 v164, v164, v52                              // 00000000A1C0: 0B4869A4
	v_mul_f32_e32 v165, v165, v53                              // 00000000A1C4: 0B4A6BA5
	v_mul_f32_e32 v166, v166, v54                              // 00000000A1C8: 0B4C6DA6
	v_mul_f32_e32 v167, v167, v55                              // 00000000A1CC: 0B4E6FA7
	v_mul_f32_e32 v164, v164, v100                             // 00000000A1D0: 0B48C9A4
	v_mul_f32_e32 v165, v165, v101                             // 00000000A1D4: 0B4ACBA5
	v_mul_f32_e32 v166, v166, v102                             // 00000000A1D8: 0B4CCDA6
	v_mul_f32_e32 v167, v167, v103                             // 00000000A1DC: 0B4ECFA7
	s_waitcnt vmcnt(24)                                        // 00000000A1E0: BF8C4F78
	buffer_load_dwordx4 a[80:83], v41, s[12:15], 0 offen       // 00000000A1E4: E05C1000 80835029
	v_mul_f32_e32 v52, v168, v168                              // 00000000A1EC: 0A6951A8
	v_mul_f32_e32 v53, v169, v169                              // 00000000A1F0: 0A6B53A9
	v_mul_f32_e32 v54, v170, v170                              // 00000000A1F4: 0A6D55AA
	v_mul_f32_e32 v55, v171, v171                              // 00000000A1F8: 0A6F57AB
	v_fma_f32 v52, v52, s77, v1                                // 00000000A1FC: D1CB0034 04049B34
	v_fma_f32 v53, v53, s77, v1                                // 00000000A204: D1CB0035 04049B35
	v_fma_f32 v54, v54, s77, v1                                // 00000000A20C: D1CB0036 04049B36
	v_fma_f32 v55, v55, s77, v1                                // 00000000A214: D1CB0037 04049B37
	v_mul_f32_e32 v52, v52, v168                               // 00000000A21C: 0A695134
	v_mul_f32_e32 v53, v53, v169                               // 00000000A220: 0A6B5335
	v_mul_f32_e32 v54, v54, v170                               // 00000000A224: 0A6D5536
	v_mul_f32_e32 v55, v55, v171                               // 00000000A228: 0A6F5737
	v_mul_f32_e64 v52, v52, s6                                 // 00000000A22C: D1050034 00000D34
	v_mul_f32_e64 v53, v53, s6                                 // 00000000A234: D1050035 00000D35
	v_mul_f32_e64 v54, v54, s6                                 // 00000000A23C: D1050036 00000D36
	v_mul_f32_e64 v55, v55, s6                                 // 00000000A244: D1050037 00000D37
	v_exp_f32_e32 v52, v52                                     // 00000000A24C: 7E684134
	v_exp_f32_e32 v53, v53                                     // 00000000A250: 7E6A4135
	v_exp_f32_e32 v54, v54                                     // 00000000A254: 7E6C4136
	v_exp_f32_e32 v55, v55                                     // 00000000A258: 7E6E4137
	buffer_load_dwordx4 a[84:87], v42, s[12:15], 0 offen       // 00000000A25C: E05C1000 8083542A
	v_add_f32_e64 v52, v52, 1.0                                // 00000000A264: D1010034 0001E534
	v_add_f32_e64 v53, v53, 1.0                                // 00000000A26C: D1010035 0001E535
	v_add_f32_e64 v54, v54, 1.0                                // 00000000A274: D1010036 0001E536
	v_add_f32_e64 v55, v55, 1.0                                // 00000000A27C: D1010037 0001E537
	v_rcp_f32_e32 v52, v52                                     // 00000000A284: 7E684534
	v_rcp_f32_e32 v53, v53                                     // 00000000A288: 7E6A4535
	v_rcp_f32_e32 v54, v54                                     // 00000000A28C: 7E6C4536
	v_rcp_f32_e32 v55, v55                                     // 00000000A290: 7E6E4537
	v_mul_f32_e32 v168, v168, v52                              // 00000000A294: 0B5069A8
	v_mul_f32_e32 v169, v169, v53                              // 00000000A298: 0B526BA9
	v_mul_f32_e32 v170, v170, v54                              // 00000000A29C: 0B546DAA
	v_mul_f32_e32 v171, v171, v55                              // 00000000A2A0: 0B566FAB
	v_mul_f32_e32 v168, v168, v104                             // 00000000A2A4: 0B50D1A8
	v_mul_f32_e32 v169, v169, v105                             // 00000000A2A8: 0B52D3A9
	v_mul_f32_e32 v170, v170, v106                             // 00000000A2AC: 0B54D5AA
	v_mul_f32_e32 v171, v171, v107                             // 00000000A2B0: 0B56D7AB
	buffer_load_dwordx4 a[88:91], v43, s[12:15], 0 offen       // 00000000A2B4: E05C1000 8083582B
	v_mul_f32_e32 v52, v172, v172                              // 00000000A2BC: 0A6959AC
	v_mul_f32_e32 v53, v173, v173                              // 00000000A2C0: 0A6B5BAD
	v_mul_f32_e32 v54, v174, v174                              // 00000000A2C4: 0A6D5DAE
	v_mul_f32_e32 v55, v175, v175                              // 00000000A2C8: 0A6F5FAF
	v_fma_f32 v52, v52, s77, v1                                // 00000000A2CC: D1CB0034 04049B34
	v_fma_f32 v53, v53, s77, v1                                // 00000000A2D4: D1CB0035 04049B35
	v_fma_f32 v54, v54, s77, v1                                // 00000000A2DC: D1CB0036 04049B36
	v_fma_f32 v55, v55, s77, v1                                // 00000000A2E4: D1CB0037 04049B37
	v_mul_f32_e32 v52, v52, v172                               // 00000000A2EC: 0A695934
	v_mul_f32_e32 v53, v53, v173                               // 00000000A2F0: 0A6B5B35
	v_mul_f32_e32 v54, v54, v174                               // 00000000A2F4: 0A6D5D36
	v_mul_f32_e32 v55, v55, v175                               // 00000000A2F8: 0A6F5F37
	v_mul_f32_e64 v52, v52, s6                                 // 00000000A2FC: D1050034 00000D34
	v_mul_f32_e64 v53, v53, s6                                 // 00000000A304: D1050035 00000D35
	v_mul_f32_e64 v54, v54, s6                                 // 00000000A30C: D1050036 00000D36
	v_mul_f32_e64 v55, v55, s6                                 // 00000000A314: D1050037 00000D37
	v_exp_f32_e32 v52, v52                                     // 00000000A31C: 7E684134
	v_exp_f32_e32 v53, v53                                     // 00000000A320: 7E6A4135
	v_exp_f32_e32 v54, v54                                     // 00000000A324: 7E6C4136
	v_exp_f32_e32 v55, v55                                     // 00000000A328: 7E6E4137
	buffer_load_dwordx4 a[92:95], v44, s[12:15], 0 offen       // 00000000A32C: E05C1000 80835C2C
	s_add_u32 s12, s78, s12                                    // 00000000A334: 800C0C4E
	s_addc_u32 s13, 0, s13                                     // 00000000A338: 820D0D80
	v_add_f32_e64 v52, v52, 1.0                                // 00000000A33C: D1010034 0001E534
	v_add_f32_e64 v53, v53, 1.0                                // 00000000A344: D1010035 0001E535
	v_add_f32_e64 v54, v54, 1.0                                // 00000000A34C: D1010036 0001E536
	v_add_f32_e64 v55, v55, 1.0                                // 00000000A354: D1010037 0001E537
	v_rcp_f32_e32 v52, v52                                     // 00000000A35C: 7E684534
	v_rcp_f32_e32 v53, v53                                     // 00000000A360: 7E6A4535
	v_rcp_f32_e32 v54, v54                                     // 00000000A364: 7E6C4536
	v_rcp_f32_e32 v55, v55                                     // 00000000A368: 7E6E4537
	v_mul_f32_e32 v172, v172, v52                              // 00000000A36C: 0B5869AC
	v_mul_f32_e32 v173, v173, v53                              // 00000000A370: 0B5A6BAD
	v_mul_f32_e32 v174, v174, v54                              // 00000000A374: 0B5C6DAE
	v_mul_f32_e32 v175, v175, v55                              // 00000000A378: 0B5E6FAF
	v_mul_f32_e32 v172, v172, v108                             // 00000000A37C: 0B58D9AC
	v_mul_f32_e32 v173, v173, v109                             // 00000000A380: 0B5ADBAD
	v_mul_f32_e32 v174, v174, v110                             // 00000000A384: 0B5CDDAE
	v_mul_f32_e32 v175, v175, v111                             // 00000000A388: 0B5EDFAF
	s_waitcnt vmcnt(24)                                        // 00000000A38C: BF8C4F78
	buffer_load_dwordx4 a[96:99], v41, s[12:15], 0 offen       // 00000000A390: E05C1000 80836029
	v_mul_f32_e32 v52, v176, v176                              // 00000000A398: 0A6961B0
	v_mul_f32_e32 v53, v177, v177                              // 00000000A39C: 0A6B63B1
	v_mul_f32_e32 v54, v178, v178                              // 00000000A3A0: 0A6D65B2
	v_mul_f32_e32 v55, v179, v179                              // 00000000A3A4: 0A6F67B3
	v_fma_f32 v52, v52, s77, v1                                // 00000000A3A8: D1CB0034 04049B34
	v_fma_f32 v53, v53, s77, v1                                // 00000000A3B0: D1CB0035 04049B35
	v_fma_f32 v54, v54, s77, v1                                // 00000000A3B8: D1CB0036 04049B36
	v_fma_f32 v55, v55, s77, v1                                // 00000000A3C0: D1CB0037 04049B37
	v_mul_f32_e32 v52, v52, v176                               // 00000000A3C8: 0A696134
	v_mul_f32_e32 v53, v53, v177                               // 00000000A3CC: 0A6B6335
	v_mul_f32_e32 v54, v54, v178                               // 00000000A3D0: 0A6D6536
	v_mul_f32_e32 v55, v55, v179                               // 00000000A3D4: 0A6F6737
	v_mul_f32_e64 v52, v52, s6                                 // 00000000A3D8: D1050034 00000D34
	v_mul_f32_e64 v53, v53, s6                                 // 00000000A3E0: D1050035 00000D35
	v_mul_f32_e64 v54, v54, s6                                 // 00000000A3E8: D1050036 00000D36
	v_mul_f32_e64 v55, v55, s6                                 // 00000000A3F0: D1050037 00000D37
	v_exp_f32_e32 v52, v52                                     // 00000000A3F8: 7E684134
	v_exp_f32_e32 v53, v53                                     // 00000000A3FC: 7E6A4135
	v_exp_f32_e32 v54, v54                                     // 00000000A400: 7E6C4136
	v_exp_f32_e32 v55, v55                                     // 00000000A404: 7E6E4137
	buffer_load_dwordx4 a[100:103], v42, s[12:15], 0 offen     // 00000000A408: E05C1000 8083642A
	v_add_f32_e64 v52, v52, 1.0                                // 00000000A410: D1010034 0001E534
	v_add_f32_e64 v53, v53, 1.0                                // 00000000A418: D1010035 0001E535
	v_add_f32_e64 v54, v54, 1.0                                // 00000000A420: D1010036 0001E536
	v_add_f32_e64 v55, v55, 1.0                                // 00000000A428: D1010037 0001E537
	v_rcp_f32_e32 v52, v52                                     // 00000000A430: 7E684534
	v_rcp_f32_e32 v53, v53                                     // 00000000A434: 7E6A4535
	v_rcp_f32_e32 v54, v54                                     // 00000000A438: 7E6C4536
	v_rcp_f32_e32 v55, v55                                     // 00000000A43C: 7E6E4537
	v_mul_f32_e32 v176, v176, v52                              // 00000000A440: 0B6069B0
	v_mul_f32_e32 v177, v177, v53                              // 00000000A444: 0B626BB1
	v_mul_f32_e32 v178, v178, v54                              // 00000000A448: 0B646DB2
	v_mul_f32_e32 v179, v179, v55                              // 00000000A44C: 0B666FB3
	v_mul_f32_e32 v176, v176, v112                             // 00000000A450: 0B60E1B0
	v_mul_f32_e32 v177, v177, v113                             // 00000000A454: 0B62E3B1
	v_mul_f32_e32 v178, v178, v114                             // 00000000A458: 0B64E5B2
	v_mul_f32_e32 v179, v179, v115                             // 00000000A45C: 0B66E7B3
	buffer_load_dwordx4 a[104:107], v43, s[12:15], 0 offen     // 00000000A460: E05C1000 8083682B
	v_mul_f32_e32 v52, v180, v180                              // 00000000A468: 0A6969B4
	v_mul_f32_e32 v53, v181, v181                              // 00000000A46C: 0A6B6BB5
	v_mul_f32_e32 v54, v182, v182                              // 00000000A470: 0A6D6DB6
	v_mul_f32_e32 v55, v183, v183                              // 00000000A474: 0A6F6FB7
	v_fma_f32 v52, v52, s77, v1                                // 00000000A478: D1CB0034 04049B34
	v_fma_f32 v53, v53, s77, v1                                // 00000000A480: D1CB0035 04049B35
	v_fma_f32 v54, v54, s77, v1                                // 00000000A488: D1CB0036 04049B36
	v_fma_f32 v55, v55, s77, v1                                // 00000000A490: D1CB0037 04049B37
	v_mul_f32_e32 v52, v52, v180                               // 00000000A498: 0A696934
	v_mul_f32_e32 v53, v53, v181                               // 00000000A49C: 0A6B6B35
	v_mul_f32_e32 v54, v54, v182                               // 00000000A4A0: 0A6D6D36
	v_mul_f32_e32 v55, v55, v183                               // 00000000A4A4: 0A6F6F37
	v_mul_f32_e64 v52, v52, s6                                 // 00000000A4A8: D1050034 00000D34
	v_mul_f32_e64 v53, v53, s6                                 // 00000000A4B0: D1050035 00000D35
	v_mul_f32_e64 v54, v54, s6                                 // 00000000A4B8: D1050036 00000D36
	v_mul_f32_e64 v55, v55, s6                                 // 00000000A4C0: D1050037 00000D37
	v_exp_f32_e32 v52, v52                                     // 00000000A4C8: 7E684134
	v_exp_f32_e32 v53, v53                                     // 00000000A4CC: 7E6A4135
	v_exp_f32_e32 v54, v54                                     // 00000000A4D0: 7E6C4136
	v_exp_f32_e32 v55, v55                                     // 00000000A4D4: 7E6E4137
	buffer_load_dwordx4 a[108:111], v44, s[12:15], 0 offen     // 00000000A4D8: E05C1000 80836C2C
	v_add_f32_e64 v52, v52, 1.0                                // 00000000A4E0: D1010034 0001E534
	v_add_f32_e64 v53, v53, 1.0                                // 00000000A4E8: D1010035 0001E535
	v_add_f32_e64 v54, v54, 1.0                                // 00000000A4F0: D1010036 0001E536
	v_add_f32_e64 v55, v55, 1.0                                // 00000000A4F8: D1010037 0001E537
	v_rcp_f32_e32 v52, v52                                     // 00000000A500: 7E684534
	v_rcp_f32_e32 v53, v53                                     // 00000000A504: 7E6A4535
	v_rcp_f32_e32 v54, v54                                     // 00000000A508: 7E6C4536
	v_rcp_f32_e32 v55, v55                                     // 00000000A50C: 7E6E4537
	v_mul_f32_e32 v180, v180, v52                              // 00000000A510: 0B6869B4
	v_mul_f32_e32 v181, v181, v53                              // 00000000A514: 0B6A6BB5
	v_mul_f32_e32 v182, v182, v54                              // 00000000A518: 0B6C6DB6
	v_mul_f32_e32 v183, v183, v55                              // 00000000A51C: 0B6E6FB7
	v_mul_f32_e32 v180, v180, v116                             // 00000000A520: 0B68E9B4
	v_mul_f32_e32 v181, v181, v117                             // 00000000A524: 0B6AEBB5
	v_mul_f32_e32 v182, v182, v118                             // 00000000A528: 0B6CEDB6
	v_mul_f32_e32 v183, v183, v119                             // 00000000A52C: 0B6EEFB7
	v_lshlrev_b32_e32 v52, 2, v0                               // 00000000A530: 24680082
	s_mul_i32 s60, s82, s71                                    // 00000000A534: 923C4752
	v_add_u32_e64 v80, v52, s60                                // 00000000A538: D1340050 00007934
	v_mov_b32_e32 v81, 0                                       // 00000000A540: 7EA20280
	s_mul_i32 s60, s83, s71                                    // 00000000A544: 923C4753
	v_add_u32_e64 v82, v52, s60                                // 00000000A548: D1340052 00007934
	v_mov_b32_e32 v83, 0                                       // 00000000A550: 7EA60280
	s_mul_i32 s60, s84, s71                                    // 00000000A554: 923C4754
	v_add_u32_e64 v84, v52, s60                                // 00000000A558: D1340054 00007934
	v_mov_b32_e32 v85, 0                                       // 00000000A560: 7EAA0280
	s_mul_i32 s60, s85, s71                                    // 00000000A564: 923C4755
	v_add_u32_e64 v86, v52, s60                                // 00000000A568: D1340056 00007934
	v_mov_b32_e32 v87, 0                                       // 00000000A570: 7EAE0280
	s_mul_i32 s60, s86, s71                                    // 00000000A574: 923C4756
	v_add_u32_e64 v88, v52, s60                                // 00000000A578: D1340058 00007934
	v_mov_b32_e32 v89, 0                                       // 00000000A580: 7EB20280
	s_mul_i32 s60, s87, s71                                    // 00000000A584: 923C4757
	v_add_u32_e64 v90, v52, s60                                // 00000000A588: D134005A 00007934
	v_mov_b32_e32 v91, 0                                       // 00000000A590: 7EB60280
	s_mul_i32 s60, s88, s71                                    // 00000000A594: 923C4758
	v_add_u32_e64 v92, v52, s60                                // 00000000A598: D134005C 00007934
	v_mov_b32_e32 v93, 0                                       // 00000000A5A0: 7EBA0280
	s_mul_i32 s60, s89, s71                                    // 00000000A5A4: 923C4759
	v_add_u32_e64 v94, v52, s60                                // 00000000A5A8: D134005E 00007934
	v_mov_b32_e32 v95, 0                                       // 00000000A5B0: 7EBE0280
	buffer_load_dword v12, v5, s[16:19], 0 offen               // 00000000A5B4: E0501000 80040C05
	v_mov_b32_e32 v22, 0x358637bd                              // 00000000A5BC: 7E2C02FF 358637BD
	v_mov_b32_e32 v23, 0x358637bd                              // 00000000A5C4: 7E2E02FF 358637BD
	v_max3_f32 v22, |v128|, |v129|, v22                        // 00000000A5CC: D1D30316 045B0380
	v_max3_f32 v22, |v130|, |v131|, v22                        // 00000000A5D4: D1D30316 045B0782
	v_max3_f32 v23, |v132|, |v133|, v23                        // 00000000A5DC: D1D30317 045F0B84
	v_max3_f32 v23, |v134|, |v135|, v23                        // 00000000A5E4: D1D30317 045F0F86
	v_max3_f32 v22, |v136|, |v137|, v22                        // 00000000A5EC: D1D30316 045B1388
	v_max3_f32 v22, |v138|, |v139|, v22                        // 00000000A5F4: D1D30316 045B178A
	v_max3_f32 v23, |v140|, |v141|, v23                        // 00000000A5FC: D1D30317 045F1B8C
	v_max3_f32 v23, |v142|, |v143|, v23                        // 00000000A604: D1D30317 045F1F8E
	v_max3_f32 v22, |v144|, |v145|, v22                        // 00000000A60C: D1D30316 045B2390
	v_max3_f32 v22, |v146|, |v147|, v22                        // 00000000A614: D1D30316 045B2792
	v_max3_f32 v23, |v148|, |v149|, v23                        // 00000000A61C: D1D30317 045F2B94
	v_max3_f32 v23, |v150|, |v151|, v23                        // 00000000A624: D1D30317 045F2F96
	v_max3_f32 v22, |v152|, |v153|, v22                        // 00000000A62C: D1D30316 045B3398
	v_max3_f32 v22, |v154|, |v155|, v22                        // 00000000A634: D1D30316 045B379A
	v_max3_f32 v23, |v156|, |v157|, v23                        // 00000000A63C: D1D30317 045F3B9C
	v_max3_f32 v23, |v158|, |v159|, v23                        // 00000000A644: D1D30317 045F3F9E
	v_max3_f32 v22, |v160|, |v161|, v22                        // 00000000A64C: D1D30316 045B43A0
	v_max3_f32 v22, |v162|, |v163|, v22                        // 00000000A654: D1D30316 045B47A2
	v_max3_f32 v23, |v164|, |v165|, v23                        // 00000000A65C: D1D30317 045F4BA4
	v_max3_f32 v23, |v166|, |v167|, v23                        // 00000000A664: D1D30317 045F4FA6
	v_max3_f32 v22, |v168|, |v169|, v22                        // 00000000A66C: D1D30316 045B53A8
	v_max3_f32 v22, |v170|, |v171|, v22                        // 00000000A674: D1D30316 045B57AA
	v_max3_f32 v23, |v172|, |v173|, v23                        // 00000000A67C: D1D30317 045F5BAC
	v_max3_f32 v23, |v174|, |v175|, v23                        // 00000000A684: D1D30317 045F5FAE
	v_max3_f32 v22, |v176|, |v177|, v22                        // 00000000A68C: D1D30316 045B63B0
	v_max3_f32 v22, |v178|, |v179|, v22                        // 00000000A694: D1D30316 045B67B2
	v_max3_f32 v23, |v180|, |v181|, v23                        // 00000000A69C: D1D30317 045F6BB4
	v_max3_f32 v23, |v182|, |v183|, v23                        // 00000000A6A4: D1D30317 045F6FB6
	v_lshlrev_b32_e32 v52, 3, v0                               // 00000000A6AC: 24680083
	s_mul_i32 s60, 0x200, s7                                   // 00000000A6B0: 923C07FF 00000200
	v_add_u32_e32 v52, s60, v52                                // 00000000A6B8: 6868683C
	ds_write_b64 v52, v[22:23] offset:16640                    // 00000000A6BC: D89A4100 00001634
	s_waitcnt lgkmcnt(0)                                       // 00000000A6C4: BF8CC07F
	s_barrier                                                  // 00000000A6C8: BF8A0000
	v_and_b32_e32 v52, 15, v0                                  // 00000000A6CC: 2668008F
	v_lshlrev_b32_e32 v52, 3, v52                              // 00000000A6D0: 24686883
	ds_read_b64 v[96:97], v52 offset:16640                     // 00000000A6D4: D8EC4100 60000034
	ds_read_b64 v[98:99], v52 offset:16768                     // 00000000A6DC: D8EC4180 62000034
	ds_read_b64 v[100:101], v52 offset:16896                   // 00000000A6E4: D8EC4200 64000034
	ds_read_b64 v[102:103], v52 offset:17024                   // 00000000A6EC: D8EC4280 66000034
	ds_read_b64 v[104:105], v52 offset:17152                   // 00000000A6F4: D8EC4300 68000034
	ds_read_b64 v[106:107], v52 offset:17280                   // 00000000A6FC: D8EC4380 6A000034
	ds_read_b64 v[108:109], v52 offset:17408                   // 00000000A704: D8EC4400 6C000034
	ds_read_b64 v[110:111], v52 offset:17536                   // 00000000A70C: D8EC4480 6E000034
	ds_read_b64 v[112:113], v52 offset:17664                   // 00000000A714: D8EC4500 70000034
	ds_read_b64 v[114:115], v52 offset:17792                   // 00000000A71C: D8EC4580 72000034
	ds_read_b64 v[116:117], v52 offset:17920                   // 00000000A724: D8EC4600 74000034
	ds_read_b64 v[118:119], v52 offset:18048                   // 00000000A72C: D8EC4680 76000034
	ds_read_b64 v[120:121], v52 offset:18176                   // 00000000A734: D8EC4700 78000034
	ds_read_b64 v[122:123], v52 offset:18304                   // 00000000A73C: D8EC4780 7A000034
	ds_read_b64 v[124:125], v52 offset:18432                   // 00000000A744: D8EC4800 7C000034
	ds_read_b64 v[126:127], v52 offset:18560                   // 00000000A74C: D8EC4880 7E000034
	s_waitcnt lgkmcnt(0)                                       // 00000000A754: BF8CC07F
	v_max3_f32 v22, |v96|, |v98|, v22                          // 00000000A758: D1D30316 045AC560
	v_max3_f32 v23, |v97|, |v99|, v23                          // 00000000A760: D1D30317 045EC761
	v_max3_f32 v22, |v100|, |v102|, v22                        // 00000000A768: D1D30316 045ACD64
	v_max3_f32 v23, |v101|, |v103|, v23                        // 00000000A770: D1D30317 045ECF65
	v_max3_f32 v22, |v104|, |v106|, v22                        // 00000000A778: D1D30316 045AD568
	v_max3_f32 v23, |v105|, |v107|, v23                        // 00000000A780: D1D30317 045ED769
	v_max3_f32 v22, |v108|, |v110|, v22                        // 00000000A788: D1D30316 045ADD6C
	v_max3_f32 v23, |v109|, |v111|, v23                        // 00000000A790: D1D30317 045EDF6D
	v_max3_f32 v22, |v112|, |v114|, v22                        // 00000000A798: D1D30316 045AE570
	v_max3_f32 v23, |v113|, |v115|, v23                        // 00000000A7A0: D1D30317 045EE771
	v_max3_f32 v22, |v116|, |v118|, v22                        // 00000000A7A8: D1D30316 045AED74
	v_max3_f32 v23, |v117|, |v119|, v23                        // 00000000A7B0: D1D30317 045EEF75
	v_max3_f32 v22, |v120|, |v122|, v22                        // 00000000A7B8: D1D30316 045AF578
	v_max3_f32 v23, |v121|, |v123|, v23                        // 00000000A7C0: D1D30317 045EF779
	v_max3_f32 v22, |v124|, |v126|, v22                        // 00000000A7C8: D1D30316 045AFD7C
	v_max3_f32 v23, |v125|, |v127|, v23                        // 00000000A7D0: D1D30317 045EFF7D
	v_rcp_f32_e32 v22, v22                                     // 00000000A7D8: 7E2C4516
	v_rcp_f32_e32 v23, v23                                     // 00000000A7DC: 7E2E4517
	v_mov_b32_e32 v52, 0x43700000                              // 00000000A7E0: 7E6802FF 43700000
	v_mul_f32_e32 v22, v52, v22                                // 00000000A7E8: 0A2C2D34
	v_mul_f32_e32 v23, v52, v23                                // 00000000A7EC: 0A2E2F34
	v_mul_f32_e32 v128, v22, v128                              // 00000000A7F0: 0B010116
	v_mul_f32_e32 v129, v22, v129                              // 00000000A7F4: 0B030316
	v_mul_f32_e32 v130, v22, v130                              // 00000000A7F8: 0B050516
	v_mul_f32_e32 v131, v22, v131                              // 00000000A7FC: 0B070716
	v_cvt_pk_fp8_f32 v128, v128, v129                          // 00000000A800: D2A20080 00030380
	v_cvt_pk_fp8_f32 v128, v130, v131 op_sel:[0,0,1]           // 00000000A808: D2A24080 00030782
	v_mul_f32_e32 v132, v23, v132                              // 00000000A810: 0B090917
	v_mul_f32_e32 v133, v23, v133                              // 00000000A814: 0B0B0B17
	v_mul_f32_e32 v134, v23, v134                              // 00000000A818: 0B0D0D17
	v_mul_f32_e32 v135, v23, v135                              // 00000000A81C: 0B0F0F17
	v_cvt_pk_fp8_f32 v129, v132, v133                          // 00000000A820: D2A20081 00030B84
	v_cvt_pk_fp8_f32 v129, v134, v135 op_sel:[0,0,1]           // 00000000A828: D2A24081 00030F86
	v_mul_f32_e32 v136, v22, v136                              // 00000000A830: 0B111116
	v_mul_f32_e32 v137, v22, v137                              // 00000000A834: 0B131316
	v_mul_f32_e32 v138, v22, v138                              // 00000000A838: 0B151516
	v_mul_f32_e32 v139, v22, v139                              // 00000000A83C: 0B171716
	v_cvt_pk_fp8_f32 v130, v136, v137                          // 00000000A840: D2A20082 00031388
	v_cvt_pk_fp8_f32 v130, v138, v139 op_sel:[0,0,1]           // 00000000A848: D2A24082 0003178A
	v_mul_f32_e32 v140, v23, v140                              // 00000000A850: 0B191917
	v_mul_f32_e32 v141, v23, v141                              // 00000000A854: 0B1B1B17
	v_mul_f32_e32 v142, v23, v142                              // 00000000A858: 0B1D1D17
	v_mul_f32_e32 v143, v23, v143                              // 00000000A85C: 0B1F1F17
	v_cvt_pk_fp8_f32 v131, v140, v141                          // 00000000A860: D2A20083 00031B8C
	v_cvt_pk_fp8_f32 v131, v142, v143 op_sel:[0,0,1]           // 00000000A868: D2A24083 00031F8E
	v_mul_f32_e32 v144, v22, v144                              // 00000000A870: 0B212116
	v_mul_f32_e32 v145, v22, v145                              // 00000000A874: 0B232316
	v_mul_f32_e32 v146, v22, v146                              // 00000000A878: 0B252516
	v_mul_f32_e32 v147, v22, v147                              // 00000000A87C: 0B272716
	v_cvt_pk_fp8_f32 v132, v144, v145                          // 00000000A880: D2A20084 00032390
	v_cvt_pk_fp8_f32 v132, v146, v147 op_sel:[0,0,1]           // 00000000A888: D2A24084 00032792
	v_mul_f32_e32 v148, v23, v148                              // 00000000A890: 0B292917
	v_mul_f32_e32 v149, v23, v149                              // 00000000A894: 0B2B2B17
	v_mul_f32_e32 v150, v23, v150                              // 00000000A898: 0B2D2D17
	v_mul_f32_e32 v151, v23, v151                              // 00000000A89C: 0B2F2F17
	v_cvt_pk_fp8_f32 v133, v148, v149                          // 00000000A8A0: D2A20085 00032B94
	v_cvt_pk_fp8_f32 v133, v150, v151 op_sel:[0,0,1]           // 00000000A8A8: D2A24085 00032F96
	v_mul_f32_e32 v152, v22, v152                              // 00000000A8B0: 0B313116
	v_mul_f32_e32 v153, v22, v153                              // 00000000A8B4: 0B333316
	v_mul_f32_e32 v154, v22, v154                              // 00000000A8B8: 0B353516
	v_mul_f32_e32 v155, v22, v155                              // 00000000A8BC: 0B373716
	v_cvt_pk_fp8_f32 v134, v152, v153                          // 00000000A8C0: D2A20086 00033398
	v_cvt_pk_fp8_f32 v134, v154, v155 op_sel:[0,0,1]           // 00000000A8C8: D2A24086 0003379A
	v_mul_f32_e32 v156, v23, v156                              // 00000000A8D0: 0B393917
	v_mul_f32_e32 v157, v23, v157                              // 00000000A8D4: 0B3B3B17
	v_mul_f32_e32 v158, v23, v158                              // 00000000A8D8: 0B3D3D17
	v_mul_f32_e32 v159, v23, v159                              // 00000000A8DC: 0B3F3F17
	v_cvt_pk_fp8_f32 v135, v156, v157                          // 00000000A8E0: D2A20087 00033B9C
	v_cvt_pk_fp8_f32 v135, v158, v159 op_sel:[0,0,1]           // 00000000A8E8: D2A24087 00033F9E
	v_mul_f32_e32 v160, v22, v160                              // 00000000A8F0: 0B414116
	v_mul_f32_e32 v161, v22, v161                              // 00000000A8F4: 0B434316
	v_mul_f32_e32 v162, v22, v162                              // 00000000A8F8: 0B454516
	v_mul_f32_e32 v163, v22, v163                              // 00000000A8FC: 0B474716
	v_cvt_pk_fp8_f32 v136, v160, v161                          // 00000000A900: D2A20088 000343A0
	v_cvt_pk_fp8_f32 v136, v162, v163 op_sel:[0,0,1]           // 00000000A908: D2A24088 000347A2
	v_mul_f32_e32 v164, v23, v164                              // 00000000A910: 0B494917
	v_mul_f32_e32 v165, v23, v165                              // 00000000A914: 0B4B4B17
	v_mul_f32_e32 v166, v23, v166                              // 00000000A918: 0B4D4D17
	v_mul_f32_e32 v167, v23, v167                              // 00000000A91C: 0B4F4F17
	v_cvt_pk_fp8_f32 v137, v164, v165                          // 00000000A920: D2A20089 00034BA4
	v_cvt_pk_fp8_f32 v137, v166, v167 op_sel:[0,0,1]           // 00000000A928: D2A24089 00034FA6
	v_mul_f32_e32 v168, v22, v168                              // 00000000A930: 0B515116
	v_mul_f32_e32 v169, v22, v169                              // 00000000A934: 0B535316
	v_mul_f32_e32 v170, v22, v170                              // 00000000A938: 0B555516
	v_mul_f32_e32 v171, v22, v171                              // 00000000A93C: 0B575716
	v_cvt_pk_fp8_f32 v138, v168, v169                          // 00000000A940: D2A2008A 000353A8
	v_cvt_pk_fp8_f32 v138, v170, v171 op_sel:[0,0,1]           // 00000000A948: D2A2408A 000357AA
	v_mul_f32_e32 v172, v23, v172                              // 00000000A950: 0B595917
	v_mul_f32_e32 v173, v23, v173                              // 00000000A954: 0B5B5B17
	v_mul_f32_e32 v174, v23, v174                              // 00000000A958: 0B5D5D17
	v_mul_f32_e32 v175, v23, v175                              // 00000000A95C: 0B5F5F17
	v_cvt_pk_fp8_f32 v139, v172, v173                          // 00000000A960: D2A2008B 00035BAC
	v_cvt_pk_fp8_f32 v139, v174, v175 op_sel:[0,0,1]           // 00000000A968: D2A2408B 00035FAE
	v_mul_f32_e32 v176, v22, v176                              // 00000000A970: 0B616116
	v_mul_f32_e32 v177, v22, v177                              // 00000000A974: 0B636316
	v_mul_f32_e32 v178, v22, v178                              // 00000000A978: 0B656516
	v_mul_f32_e32 v179, v22, v179                              // 00000000A97C: 0B676716
	v_cvt_pk_fp8_f32 v140, v176, v177                          // 00000000A980: D2A2008C 000363B0
	v_cvt_pk_fp8_f32 v140, v178, v179 op_sel:[0,0,1]           // 00000000A988: D2A2408C 000367B2
	v_mul_f32_e32 v180, v23, v180                              // 00000000A990: 0B696917
	v_mul_f32_e32 v181, v23, v181                              // 00000000A994: 0B6B6B17
	v_mul_f32_e32 v182, v23, v182                              // 00000000A998: 0B6D6D17
	v_mul_f32_e32 v183, v23, v183                              // 00000000A99C: 0B6F6F17
	v_cvt_pk_fp8_f32 v141, v180, v181                          // 00000000A9A0: D2A2008D 00036BB4
	v_cvt_pk_fp8_f32 v141, v182, v183 op_sel:[0,0,1]           // 00000000A9A8: D2A2408D 00036FB6
	v_rcp_f32_e32 v24, v22                                     // 00000000A9B0: 7E304516
	v_rcp_f32_e32 v25, v23                                     // 00000000A9B4: 7E324517
	v_lshrrev_b32_e32 v52, 5, v0                               // 00000000A9B8: 20680085
	v_lshlrev_b32_e32 v53, 5, v52                              // 00000000A9BC: 246A6885
	v_and_b32_e32 v52, 31, v0                                  // 00000000A9C0: 2668009F
	v_lshrrev_b32_e32 v54, 4, v52                              // 00000000A9C4: 206C6884
	v_add_u32_e32 v53, v54, v53                                // 00000000A9C8: 686A6B36
	v_and_b32_e32 v52, 15, v0                                  // 00000000A9CC: 2668008F
	v_lshlrev_b32_e32 v52, 1, v52                              // 00000000A9D0: 24686881
	v_add_u32_e32 v53, v52, v53                                // 00000000A9D4: 686A6B34
	v_lshlrev_b32_e32 v52, 2, v53                              // 00000000A9D8: 24686A82
	s_mul_i32 s60, 0x100, s7                                   // 00000000A9DC: 923C07FF 00000100
	v_add_u32_e64 v52, v52, s60                                // 00000000A9E4: D1340034 00007934
	ds_write_b32 v52, v128 offset:18688                        // 00000000A9EC: D81A4900 00008034
	ds_write_b32 v52, v129 offset:25856                        // 00000000A9F4: D81A6500 00008134
	ds_write_b32 v52, v130 offset:19712                        // 00000000A9FC: D81A4D00 00008234
	ds_write_b32 v52, v131 offset:26880                        // 00000000AA04: D81A6900 00008334
	ds_write_b32 v52, v132 offset:20736                        // 00000000AA0C: D81A5100 00008434
	ds_write_b32 v52, v133 offset:27904                        // 00000000AA14: D81A6D00 00008534
	ds_write_b32 v52, v134 offset:21760                        // 00000000AA1C: D81A5500 00008634
	ds_write_b32 v52, v135 offset:28928                        // 00000000AA24: D81A7100 00008734
	ds_write_b32 v52, v136 offset:22784                        // 00000000AA2C: D81A5900 00008834
	ds_write_b32 v52, v137 offset:29952                        // 00000000AA34: D81A7500 00008934
	ds_write_b32 v52, v138 offset:23808                        // 00000000AA3C: D81A5D00 00008A34
	ds_write_b32 v52, v139 offset:30976                        // 00000000AA44: D81A7900 00008B34
	ds_write_b32 v52, v140 offset:24832                        // 00000000AA4C: D81A6100 00008C34
	ds_write_b32 v52, v141 offset:32000                        // 00000000AA54: D81A7D00 00008D34
	s_waitcnt lgkmcnt(0)                                       // 00000000AA5C: BF8CC07F
	s_barrier                                                  // 00000000AA60: BF8A0000
	v_lshrrev_b32_e32 v52, 4, v0                               // 00000000AA64: 20680084
	v_lshlrev_b32_e32 v53, 6, v52                              // 00000000AA68: 246A6886
	v_and_b32_e32 v52, 15, v0                                  // 00000000AA6C: 2668008F
	v_lshlrev_b32_e32 v52, 1, v52                              // 00000000AA70: 24686881
	v_add_u32_e32 v53, v52, v53                                // 00000000AA74: 686A6B34
	v_lshlrev_b32_e32 v52, 2, v53                              // 00000000AA78: 24686A82
	ds_read_b64 v[128:129], v52 offset:18688                   // 00000000AA7C: D8EC4900 80000034
	ds_read_b64 v[130:131], v52 offset:18816                   // 00000000AA84: D8EC4980 82000034
	ds_read_b64 v[132:133], v52 offset:19712                   // 00000000AA8C: D8EC4D00 84000034
	ds_read_b64 v[134:135], v52 offset:19840                   // 00000000AA94: D8EC4D80 86000034
	ds_read_b64 v[136:137], v52 offset:20736                   // 00000000AA9C: D8EC5100 88000034
	ds_read_b64 v[138:139], v52 offset:20864                   // 00000000AAA4: D8EC5180 8A000034
	ds_read_b64 v[140:141], v52 offset:21760                   // 00000000AAAC: D8EC5500 8C000034
	ds_read_b64 v[142:143], v52 offset:21888                   // 00000000AAB4: D8EC5580 8E000034
	ds_read_b64 v[144:145], v52 offset:22784                   // 00000000AABC: D8EC5900 90000034
	ds_read_b64 v[146:147], v52 offset:22912                   // 00000000AAC4: D8EC5980 92000034
	ds_read_b64 v[148:149], v52 offset:23808                   // 00000000AACC: D8EC5D00 94000034
	ds_read_b64 v[150:151], v52 offset:23936                   // 00000000AAD4: D8EC5D80 96000034
	ds_read_b64 v[152:153], v52 offset:24832                   // 00000000AADC: D8EC6100 98000034
	ds_read_b64 v[154:155], v52 offset:24960                   // 00000000AAE4: D8EC6180 9A000034
	ds_read_b64 v[156:157], v52 offset:25856                   // 00000000AAEC: D8EC6500 9C000034
	ds_read_b64 v[158:159], v52 offset:25984                   // 00000000AAF4: D8EC6580 9E000034
	ds_read_b64 v[160:161], v52 offset:26880                   // 00000000AAFC: D8EC6900 A0000034
	ds_read_b64 v[162:163], v52 offset:27008                   // 00000000AB04: D8EC6980 A2000034
	ds_read_b64 v[164:165], v52 offset:27904                   // 00000000AB0C: D8EC6D00 A4000034
	ds_read_b64 v[166:167], v52 offset:28032                   // 00000000AB14: D8EC6D80 A6000034
	ds_read_b64 v[168:169], v52 offset:28928                   // 00000000AB1C: D8EC7100 A8000034
	ds_read_b64 v[170:171], v52 offset:29056                   // 00000000AB24: D8EC7180 AA000034
	ds_read_b64 v[172:173], v52 offset:29952                   // 00000000AB2C: D8EC7500 AC000034
	ds_read_b64 v[174:175], v52 offset:30080                   // 00000000AB34: D8EC7580 AE000034
	ds_read_b64 v[176:177], v52 offset:30976                   // 00000000AB3C: D8EC7900 B0000034
	ds_read_b64 v[178:179], v52 offset:31104                   // 00000000AB44: D8EC7980 B2000034
	ds_read_b64 v[180:181], v52 offset:32000                   // 00000000AB4C: D8EC7D00 B4000034
	ds_read_b64 v[182:183], v52 offset:32128                   // 00000000AB54: D8EC7D80 B6000034
	s_add_u32 s12, s56, s12                                    // 00000000AB5C: 800C0C38
	s_addc_u32 s13, 0, s13                                     // 00000000AB60: 820D0D80
	s_add_u32 s16, s79, s16                                    // 00000000AB64: 8010104F
	s_addc_u32 s17, 0, s17                                     // 00000000AB68: 82111180
	s_mov_b32 s80, 0                                           // 00000000AB6C: BED00080
	s_waitcnt vmcnt(0) expcnt(0) lgkmcnt(0)                    // 00000000AB70: BF8C0000

000000000000ab74 <label_1F5D>:
	s_waitcnt vmcnt(41)                                        // 00000000AB74: BF8C8F79
	s_barrier                                                  // 00000000AB78: BF8A0000
	v_mfma_f32_16x16x32_fp8_fp8 v[184:187], a[0:1], v[128:129], 0// 00000000AB7C: D3F300B8 0A030100
	buffer_load_dwordx4 a[112:115], v41, s[12:15], 0 offen     // 00000000AB84: E05C1000 80837029
	v_mfma_f32_16x16x32_fp8_fp8 v[184:187], a[2:3], v[130:131], v[184:187]// 00000000AB8C: D3F300B8 0EE30502
	v_mfma_f32_16x16x32_fp8_fp8 v[188:191], a[0:1], v[156:157], 0// 00000000AB94: D3F300BC 0A033900
	v_mfma_f32_16x16x32_fp8_fp8 v[188:191], a[2:3], v[158:159], v[188:191]// 00000000AB9C: D3F300BC 0EF33D02
	v_mfma_f32_16x16x32_fp8_fp8 v[192:195], a[4:5], v[128:129], 0// 00000000ABA4: D3F300C0 0A030104
	buffer_load_dwordx4 a[116:119], v42, s[12:15], 0 offen     // 00000000ABAC: E05C1000 8083742A
	v_mfma_f32_16x16x32_fp8_fp8 v[192:195], a[6:7], v[130:131], v[192:195]// 00000000ABB4: D3F300C0 0F030506
	v_mfma_f32_16x16x32_fp8_fp8 v[196:199], a[4:5], v[156:157], 0// 00000000ABBC: D3F300C4 0A033904
	v_mfma_f32_16x16x32_fp8_fp8 v[196:199], a[6:7], v[158:159], v[196:199]// 00000000ABC4: D3F300C4 0F133D06
	v_mfma_f32_16x16x32_fp8_fp8 v[200:203], a[8:9], v[128:129], 0// 00000000ABCC: D3F300C8 0A030108
	buffer_load_dwordx4 a[120:123], v43, s[12:15], 0 offen     // 00000000ABD4: E05C1000 8083782B
	v_mfma_f32_16x16x32_fp8_fp8 v[200:203], a[10:11], v[130:131], v[200:203]// 00000000ABDC: D3F300C8 0F23050A
	v_mfma_f32_16x16x32_fp8_fp8 v[204:207], a[8:9], v[156:157], 0// 00000000ABE4: D3F300CC 0A033908
	v_mfma_f32_16x16x32_fp8_fp8 v[204:207], a[10:11], v[158:159], v[204:207]// 00000000ABEC: D3F300CC 0F333D0A
	v_mfma_f32_16x16x32_fp8_fp8 v[208:211], a[12:13], v[128:129], 0// 00000000ABF4: D3F300D0 0A03010C
	buffer_load_dwordx4 a[124:127], v44, s[12:15], 0 offen     // 00000000ABFC: E05C1000 80837C2C
	s_add_u32 s12, s78, s12                                    // 00000000AC04: 800C0C4E
	s_addc_u32 s13, 0, s13                                     // 00000000AC08: 820D0D80
	v_mfma_f32_16x16x32_fp8_fp8 v[208:211], a[14:15], v[130:131], v[208:211]// 00000000AC0C: D3F300D0 0F43050E
	v_mfma_f32_16x16x32_fp8_fp8 v[212:215], a[12:13], v[156:157], 0// 00000000AC14: D3F300D4 0A03390C
	v_mfma_f32_16x16x32_fp8_fp8 v[212:215], a[14:15], v[158:159], v[212:215]// 00000000AC1C: D3F300D4 0F533D0E
	s_waitcnt vmcnt(41)                                        // 00000000AC24: BF8C8F79
	v_mfma_f32_16x16x32_fp8_fp8 v[184:187], a[16:17], v[132:133], v[184:187]// 00000000AC28: D3F300B8 0EE30910
	buffer_load_dwordx4 a[128:131], v41, s[12:15], 0 offen     // 00000000AC30: E05C1000 80838029
	v_mfma_f32_16x16x32_fp8_fp8 v[184:187], a[18:19], v[134:135], v[184:187]// 00000000AC38: D3F300B8 0EE30D12
	v_mfma_f32_16x16x32_fp8_fp8 v[188:191], a[16:17], v[160:161], v[188:191]// 00000000AC40: D3F300BC 0EF34110
	v_mfma_f32_16x16x32_fp8_fp8 v[188:191], a[18:19], v[162:163], v[188:191]// 00000000AC48: D3F300BC 0EF34512
	v_mfma_f32_16x16x32_fp8_fp8 v[192:195], a[20:21], v[132:133], v[192:195]// 00000000AC50: D3F300C0 0F030914
	buffer_load_dwordx4 a[132:135], v42, s[12:15], 0 offen     // 00000000AC58: E05C1000 8083842A
	v_mfma_f32_16x16x32_fp8_fp8 v[192:195], a[22:23], v[134:135], v[192:195]// 00000000AC60: D3F300C0 0F030D16
	v_mfma_f32_16x16x32_fp8_fp8 v[196:199], a[20:21], v[160:161], v[196:199]// 00000000AC68: D3F300C4 0F134114
	v_mfma_f32_16x16x32_fp8_fp8 v[196:199], a[22:23], v[162:163], v[196:199]// 00000000AC70: D3F300C4 0F134516
	v_mfma_f32_16x16x32_fp8_fp8 v[200:203], a[24:25], v[132:133], v[200:203]// 00000000AC78: D3F300C8 0F230918
	buffer_load_dwordx4 a[136:139], v43, s[12:15], 0 offen     // 00000000AC80: E05C1000 8083882B
	v_mfma_f32_16x16x32_fp8_fp8 v[200:203], a[26:27], v[134:135], v[200:203]// 00000000AC88: D3F300C8 0F230D1A
	v_mfma_f32_16x16x32_fp8_fp8 v[204:207], a[24:25], v[160:161], v[204:207]// 00000000AC90: D3F300CC 0F334118
	v_mfma_f32_16x16x32_fp8_fp8 v[204:207], a[26:27], v[162:163], v[204:207]// 00000000AC98: D3F300CC 0F33451A
	v_mfma_f32_16x16x32_fp8_fp8 v[208:211], a[28:29], v[132:133], v[208:211]// 00000000ACA0: D3F300D0 0F43091C
	buffer_load_dwordx4 a[140:143], v44, s[12:15], 0 offen     // 00000000ACA8: E05C1000 80838C2C
	s_add_u32 s12, s78, s12                                    // 00000000ACB0: 800C0C4E
	s_addc_u32 s13, 0, s13                                     // 00000000ACB4: 820D0D80
	v_mfma_f32_16x16x32_fp8_fp8 v[208:211], a[30:31], v[134:135], v[208:211]// 00000000ACB8: D3F300D0 0F430D1E
	v_mfma_f32_16x16x32_fp8_fp8 v[212:215], a[28:29], v[160:161], v[212:215]// 00000000ACC0: D3F300D4 0F53411C
	v_mfma_f32_16x16x32_fp8_fp8 v[212:215], a[30:31], v[162:163], v[212:215]// 00000000ACC8: D3F300D4 0F53451E
	s_waitcnt vmcnt(41)                                        // 00000000ACD0: BF8C8F79
	v_mfma_f32_16x16x32_fp8_fp8 v[184:187], a[32:33], v[136:137], v[184:187]// 00000000ACD4: D3F300B8 0EE31120
	buffer_load_dwordx4 a[144:147], v41, s[12:15], 0 offen     // 00000000ACDC: E05C1000 80839029
	v_mfma_f32_16x16x32_fp8_fp8 v[184:187], a[34:35], v[138:139], v[184:187]// 00000000ACE4: D3F300B8 0EE31522
	v_mfma_f32_16x16x32_fp8_fp8 v[188:191], a[32:33], v[164:165], v[188:191]// 00000000ACEC: D3F300BC 0EF34920
	v_mfma_f32_16x16x32_fp8_fp8 v[188:191], a[34:35], v[166:167], v[188:191]// 00000000ACF4: D3F300BC 0EF34D22
	v_mfma_f32_16x16x32_fp8_fp8 v[192:195], a[36:37], v[136:137], v[192:195]// 00000000ACFC: D3F300C0 0F031124
	buffer_load_dwordx4 a[148:151], v42, s[12:15], 0 offen     // 00000000AD04: E05C1000 8083942A
	v_mfma_f32_16x16x32_fp8_fp8 v[192:195], a[38:39], v[138:139], v[192:195]// 00000000AD0C: D3F300C0 0F031526
	v_mfma_f32_16x16x32_fp8_fp8 v[196:199], a[36:37], v[164:165], v[196:199]// 00000000AD14: D3F300C4 0F134924
	v_mfma_f32_16x16x32_fp8_fp8 v[196:199], a[38:39], v[166:167], v[196:199]// 00000000AD1C: D3F300C4 0F134D26
	v_mfma_f32_16x16x32_fp8_fp8 v[200:203], a[40:41], v[136:137], v[200:203]// 00000000AD24: D3F300C8 0F231128
	buffer_load_dwordx4 a[152:155], v43, s[12:15], 0 offen     // 00000000AD2C: E05C1000 8083982B
	v_mfma_f32_16x16x32_fp8_fp8 v[200:203], a[42:43], v[138:139], v[200:203]// 00000000AD34: D3F300C8 0F23152A
	v_mfma_f32_16x16x32_fp8_fp8 v[204:207], a[40:41], v[164:165], v[204:207]// 00000000AD3C: D3F300CC 0F334928
	v_mfma_f32_16x16x32_fp8_fp8 v[204:207], a[42:43], v[166:167], v[204:207]// 00000000AD44: D3F300CC 0F334D2A
	v_mfma_f32_16x16x32_fp8_fp8 v[208:211], a[44:45], v[136:137], v[208:211]// 00000000AD4C: D3F300D0 0F43112C
	buffer_load_dwordx4 a[156:159], v44, s[12:15], 0 offen     // 00000000AD54: E05C1000 80839C2C
	s_add_u32 s12, s78, s12                                    // 00000000AD5C: 800C0C4E
	s_addc_u32 s13, 0, s13                                     // 00000000AD60: 820D0D80
	v_mfma_f32_16x16x32_fp8_fp8 v[208:211], a[46:47], v[138:139], v[208:211]// 00000000AD64: D3F300D0 0F43152E
	v_mfma_f32_16x16x32_fp8_fp8 v[212:215], a[44:45], v[164:165], v[212:215]// 00000000AD6C: D3F300D4 0F53492C
	v_mfma_f32_16x16x32_fp8_fp8 v[212:215], a[46:47], v[166:167], v[212:215]// 00000000AD74: D3F300D4 0F534D2E
	s_waitcnt vmcnt(41)                                        // 00000000AD7C: BF8C8F79
	v_mfma_f32_16x16x32_fp8_fp8 v[184:187], a[48:49], v[140:141], v[184:187]// 00000000AD80: D3F300B8 0EE31930
	buffer_load_dwordx4 a[160:163], v41, s[12:15], 0 offen     // 00000000AD88: E05C1000 8083A029
	v_mfma_f32_16x16x32_fp8_fp8 v[184:187], a[50:51], v[142:143], v[184:187]// 00000000AD90: D3F300B8 0EE31D32
	v_mfma_f32_16x16x32_fp8_fp8 v[188:191], a[48:49], v[168:169], v[188:191]// 00000000AD98: D3F300BC 0EF35130
	v_mfma_f32_16x16x32_fp8_fp8 v[188:191], a[50:51], v[170:171], v[188:191]// 00000000ADA0: D3F300BC 0EF35532
	v_mfma_f32_16x16x32_fp8_fp8 v[192:195], a[52:53], v[140:141], v[192:195]// 00000000ADA8: D3F300C0 0F031934
	buffer_load_dwordx4 a[164:167], v42, s[12:15], 0 offen     // 00000000ADB0: E05C1000 8083A42A
	v_mfma_f32_16x16x32_fp8_fp8 v[192:195], a[54:55], v[142:143], v[192:195]// 00000000ADB8: D3F300C0 0F031D36
	v_mfma_f32_16x16x32_fp8_fp8 v[196:199], a[52:53], v[168:169], v[196:199]// 00000000ADC0: D3F300C4 0F135134
	v_mfma_f32_16x16x32_fp8_fp8 v[196:199], a[54:55], v[170:171], v[196:199]// 00000000ADC8: D3F300C4 0F135536
	v_mfma_f32_16x16x32_fp8_fp8 v[200:203], a[56:57], v[140:141], v[200:203]// 00000000ADD0: D3F300C8 0F231938
	buffer_load_dwordx4 a[168:171], v43, s[12:15], 0 offen     // 00000000ADD8: E05C1000 8083A82B
	v_mfma_f32_16x16x32_fp8_fp8 v[200:203], a[58:59], v[142:143], v[200:203]// 00000000ADE0: D3F300C8 0F231D3A
	v_mfma_f32_16x16x32_fp8_fp8 v[204:207], a[56:57], v[168:169], v[204:207]// 00000000ADE8: D3F300CC 0F335138
	v_mfma_f32_16x16x32_fp8_fp8 v[204:207], a[58:59], v[170:171], v[204:207]// 00000000ADF0: D3F300CC 0F33553A
	v_mfma_f32_16x16x32_fp8_fp8 v[208:211], a[60:61], v[140:141], v[208:211]// 00000000ADF8: D3F300D0 0F43193C
	buffer_load_dwordx4 a[172:175], v44, s[12:15], 0 offen     // 00000000AE00: E05C1000 8083AC2C
	s_add_u32 s12, s78, s12                                    // 00000000AE08: 800C0C4E
	s_addc_u32 s13, 0, s13                                     // 00000000AE0C: 820D0D80
	v_mfma_f32_16x16x32_fp8_fp8 v[208:211], a[62:63], v[142:143], v[208:211]// 00000000AE10: D3F300D0 0F431D3E
	v_mfma_f32_16x16x32_fp8_fp8 v[212:215], a[60:61], v[168:169], v[212:215]// 00000000AE18: D3F300D4 0F53513C
	v_mfma_f32_16x16x32_fp8_fp8 v[212:215], a[62:63], v[170:171], v[212:215]// 00000000AE20: D3F300D4 0F53553E
	s_waitcnt vmcnt(41)                                        // 00000000AE28: BF8C8F79
	v_mfma_f32_16x16x32_fp8_fp8 v[184:187], a[64:65], v[144:145], v[184:187]// 00000000AE2C: D3F300B8 0EE32140
	buffer_load_dwordx4 a[176:179], v41, s[12:15], 0 offen     // 00000000AE34: E05C1000 8083B029
	v_mfma_f32_16x16x32_fp8_fp8 v[184:187], a[66:67], v[146:147], v[184:187]// 00000000AE3C: D3F300B8 0EE32542
	v_mfma_f32_16x16x32_fp8_fp8 v[188:191], a[64:65], v[172:173], v[188:191]// 00000000AE44: D3F300BC 0EF35940
	v_mfma_f32_16x16x32_fp8_fp8 v[188:191], a[66:67], v[174:175], v[188:191]// 00000000AE4C: D3F300BC 0EF35D42
	v_mfma_f32_16x16x32_fp8_fp8 v[192:195], a[68:69], v[144:145], v[192:195]// 00000000AE54: D3F300C0 0F032144
	buffer_load_dwordx4 a[180:183], v42, s[12:15], 0 offen     // 00000000AE5C: E05C1000 8083B42A
	v_mfma_f32_16x16x32_fp8_fp8 v[192:195], a[70:71], v[146:147], v[192:195]// 00000000AE64: D3F300C0 0F032546
	v_mfma_f32_16x16x32_fp8_fp8 v[196:199], a[68:69], v[172:173], v[196:199]// 00000000AE6C: D3F300C4 0F135944
	v_mfma_f32_16x16x32_fp8_fp8 v[196:199], a[70:71], v[174:175], v[196:199]// 00000000AE74: D3F300C4 0F135D46
	v_mfma_f32_16x16x32_fp8_fp8 v[200:203], a[72:73], v[144:145], v[200:203]// 00000000AE7C: D3F300C8 0F232148
	buffer_load_dwordx4 a[184:187], v43, s[12:15], 0 offen     // 00000000AE84: E05C1000 8083B82B
	v_mfma_f32_16x16x32_fp8_fp8 v[200:203], a[74:75], v[146:147], v[200:203]// 00000000AE8C: D3F300C8 0F23254A
	v_mfma_f32_16x16x32_fp8_fp8 v[204:207], a[72:73], v[172:173], v[204:207]// 00000000AE94: D3F300CC 0F335948
	v_mfma_f32_16x16x32_fp8_fp8 v[204:207], a[74:75], v[174:175], v[204:207]// 00000000AE9C: D3F300CC 0F335D4A
	v_mfma_f32_16x16x32_fp8_fp8 v[208:211], a[76:77], v[144:145], v[208:211]// 00000000AEA4: D3F300D0 0F43214C
	buffer_load_dwordx4 a[188:191], v44, s[12:15], 0 offen     // 00000000AEAC: E05C1000 8083BC2C
	s_add_u32 s12, s78, s12                                    // 00000000AEB4: 800C0C4E
	s_addc_u32 s13, 0, s13                                     // 00000000AEB8: 820D0D80
	v_mfma_f32_16x16x32_fp8_fp8 v[208:211], a[78:79], v[146:147], v[208:211]// 00000000AEBC: D3F300D0 0F43254E
	v_mfma_f32_16x16x32_fp8_fp8 v[212:215], a[76:77], v[172:173], v[212:215]// 00000000AEC4: D3F300D4 0F53594C
	v_mfma_f32_16x16x32_fp8_fp8 v[212:215], a[78:79], v[174:175], v[212:215]// 00000000AECC: D3F300D4 0F535D4E
	s_waitcnt vmcnt(41)                                        // 00000000AED4: BF8C8F79
	v_mfma_f32_16x16x32_fp8_fp8 v[184:187], a[80:81], v[148:149], v[184:187]// 00000000AED8: D3F300B8 0EE32950
	buffer_load_dwordx4 a[192:195], v41, s[12:15], 0 offen     // 00000000AEE0: E05C1000 8083C029
	v_mfma_f32_16x16x32_fp8_fp8 v[184:187], a[82:83], v[150:151], v[184:187]// 00000000AEE8: D3F300B8 0EE32D52
	v_mfma_f32_16x16x32_fp8_fp8 v[188:191], a[80:81], v[176:177], v[188:191]// 00000000AEF0: D3F300BC 0EF36150
	v_mfma_f32_16x16x32_fp8_fp8 v[188:191], a[82:83], v[178:179], v[188:191]// 00000000AEF8: D3F300BC 0EF36552
	v_mfma_f32_16x16x32_fp8_fp8 v[192:195], a[84:85], v[148:149], v[192:195]// 00000000AF00: D3F300C0 0F032954
	buffer_load_dwordx4 a[196:199], v42, s[12:15], 0 offen     // 00000000AF08: E05C1000 8083C42A
	v_mfma_f32_16x16x32_fp8_fp8 v[192:195], a[86:87], v[150:151], v[192:195]// 00000000AF10: D3F300C0 0F032D56
	v_mfma_f32_16x16x32_fp8_fp8 v[196:199], a[84:85], v[176:177], v[196:199]// 00000000AF18: D3F300C4 0F136154
	v_mfma_f32_16x16x32_fp8_fp8 v[196:199], a[86:87], v[178:179], v[196:199]// 00000000AF20: D3F300C4 0F136556
	v_mfma_f32_16x16x32_fp8_fp8 v[200:203], a[88:89], v[148:149], v[200:203]// 00000000AF28: D3F300C8 0F232958
	buffer_load_dwordx4 a[200:203], v43, s[12:15], 0 offen     // 00000000AF30: E05C1000 8083C82B
	v_mfma_f32_16x16x32_fp8_fp8 v[200:203], a[90:91], v[150:151], v[200:203]// 00000000AF38: D3F300C8 0F232D5A
	v_mfma_f32_16x16x32_fp8_fp8 v[204:207], a[88:89], v[176:177], v[204:207]// 00000000AF40: D3F300CC 0F336158
	v_mfma_f32_16x16x32_fp8_fp8 v[204:207], a[90:91], v[178:179], v[204:207]// 00000000AF48: D3F300CC 0F33655A
	v_mfma_f32_16x16x32_fp8_fp8 v[208:211], a[92:93], v[148:149], v[208:211]// 00000000AF50: D3F300D0 0F43295C
	buffer_load_dwordx4 a[204:207], v44, s[12:15], 0 offen     // 00000000AF58: E05C1000 8083CC2C
	s_add_u32 s12, s78, s12                                    // 00000000AF60: 800C0C4E
	s_addc_u32 s13, 0, s13                                     // 00000000AF64: 820D0D80
	v_mfma_f32_16x16x32_fp8_fp8 v[208:211], a[94:95], v[150:151], v[208:211]// 00000000AF68: D3F300D0 0F432D5E
	v_mfma_f32_16x16x32_fp8_fp8 v[212:215], a[92:93], v[176:177], v[212:215]// 00000000AF70: D3F300D4 0F53615C
	v_mfma_f32_16x16x32_fp8_fp8 v[212:215], a[94:95], v[178:179], v[212:215]// 00000000AF78: D3F300D4 0F53655E
	s_waitcnt vmcnt(40)                                        // 00000000AF80: BF8C8F78
	v_mfma_f32_16x16x32_fp8_fp8 v[184:187], a[96:97], v[152:153], v[184:187]// 00000000AF84: D3F300B8 0EE33160
	buffer_load_dwordx4 a[208:211], v41, s[12:15], 0 offen     // 00000000AF8C: E05C1000 8083D029
	v_mfma_f32_16x16x32_fp8_fp8 v[184:187], a[98:99], v[154:155], v[184:187]// 00000000AF94: D3F300B8 0EE33562
	v_mfma_f32_16x16x32_fp8_fp8 v[188:191], a[96:97], v[180:181], v[188:191]// 00000000AF9C: D3F300BC 0EF36960
	buffer_load_dword v13, v5, s[16:19], 0 offen               // 00000000AFA4: E0501000 80040D05
	v_mfma_f32_16x16x32_fp8_fp8 v[188:191], a[98:99], v[182:183], v[188:191]// 00000000AFAC: D3F300BC 0EF36D62
	v_mfma_f32_16x16x32_fp8_fp8 v[192:195], a[100:101], v[152:153], v[192:195]// 00000000AFB4: D3F300C0 0F033164
	buffer_load_dwordx4 a[212:215], v42, s[12:15], 0 offen     // 00000000AFBC: E05C1000 8083D42A
	v_mfma_f32_16x16x32_fp8_fp8 v[192:195], a[102:103], v[154:155], v[192:195]// 00000000AFC4: D3F300C0 0F033566
	v_mfma_f32_16x16x32_fp8_fp8 v[196:199], a[100:101], v[180:181], v[196:199]// 00000000AFCC: D3F300C4 0F136964
	v_mfma_f32_16x16x32_fp8_fp8 v[196:199], a[102:103], v[182:183], v[196:199]// 00000000AFD4: D3F300C4 0F136D66
	v_mfma_f32_16x16x32_fp8_fp8 v[200:203], a[104:105], v[152:153], v[200:203]// 00000000AFDC: D3F300C8 0F233168
	buffer_load_dwordx4 a[216:219], v43, s[12:15], 0 offen     // 00000000AFE4: E05C1000 8083D82B
	v_mfma_f32_16x16x32_fp8_fp8 v[200:203], a[106:107], v[154:155], v[200:203]// 00000000AFEC: D3F300C8 0F23356A
	v_mfma_f32_16x16x32_fp8_fp8 v[204:207], a[104:105], v[180:181], v[204:207]// 00000000AFF4: D3F300CC 0F336968
	v_mfma_f32_16x16x32_fp8_fp8 v[204:207], a[106:107], v[182:183], v[204:207]// 00000000AFFC: D3F300CC 0F336D6A
	v_mfma_f32_16x16x32_fp8_fp8 v[208:211], a[108:109], v[152:153], v[208:211]// 00000000B004: D3F300D0 0F43316C
	buffer_load_dwordx4 a[220:223], v44, s[12:15], 0 offen     // 00000000B00C: E05C1000 8083DC2C
	v_mfma_f32_16x16x32_fp8_fp8 v[208:211], a[110:111], v[154:155], v[208:211]// 00000000B014: D3F300D0 0F43356E
	v_mfma_f32_16x16x32_fp8_fp8 v[212:215], a[108:109], v[180:181], v[212:215]// 00000000B01C: D3F300D4 0F53696C
	v_mfma_f32_16x16x32_fp8_fp8 v[212:215], a[110:111], v[182:183], v[212:215]// 00000000B024: D3F300D4 0F536D6E
	s_add_u32 s60, 0x200, s80                                  // 00000000B02C: 803C50FF 00000200
	s_cmp_lt_u32 s60, s81                                      // 00000000B034: BF0A513C
	s_cselect_b32 s56, s56, 0                                  // 00000000B038: 85388038
	s_cselect_b32 s78, s78, 0                                  // 00000000B03C: 854E804E
	s_cselect_b32 s79, s79, 0                                  // 00000000B040: 854F804F
	s_add_u32 s12, s56, s12                                    // 00000000B044: 800C0C38
	s_addc_u32 s13, 0, s13                                     // 00000000B048: 820D0D80
	s_add_u32 s16, s79, s16                                    // 00000000B04C: 8010104F
	s_addc_u32 s17, 0, s17                                     // 00000000B050: 82111180
	v_mul_f32_e32 v184, v24, v184                              // 00000000B054: 0B717118
	v_mul_f32_e32 v185, v24, v185                              // 00000000B058: 0B737318
	v_mul_f32_e32 v186, v24, v186                              // 00000000B05C: 0B757518
	v_mul_f32_e32 v187, v24, v187                              // 00000000B060: 0B777718
	v_mul_f32_dpp v184, v12, v184 row_newbcast:0 row_mask:0xf bank_mask:0xf// 00000000B064: 0B7170FA FF01500C
	v_mul_f32_dpp v185, v12, v185 row_newbcast:1 row_mask:0xf bank_mask:0xf// 00000000B06C: 0B7372FA FF01510C
	v_mul_f32_dpp v186, v12, v186 row_newbcast:2 row_mask:0xf bank_mask:0xf// 00000000B074: 0B7574FA FF01520C
	v_mul_f32_dpp v187, v12, v187 row_newbcast:3 row_mask:0xf bank_mask:0xf// 00000000B07C: 0B7776FA FF01530C
	v_mul_f32_e32 v188, v25, v188                              // 00000000B084: 0B797919
	v_mul_f32_e32 v189, v25, v189                              // 00000000B088: 0B7B7B19
	v_mul_f32_e32 v190, v25, v190                              // 00000000B08C: 0B7D7D19
	v_mul_f32_e32 v191, v25, v191                              // 00000000B090: 0B7F7F19
	v_mul_f32_dpp v188, v12, v188 row_newbcast:0 row_mask:0xf bank_mask:0xf// 00000000B094: 0B7978FA FF01500C
	v_mul_f32_dpp v189, v12, v189 row_newbcast:1 row_mask:0xf bank_mask:0xf// 00000000B09C: 0B7B7AFA FF01510C
	v_mul_f32_dpp v190, v12, v190 row_newbcast:2 row_mask:0xf bank_mask:0xf// 00000000B0A4: 0B7D7CFA FF01520C
	v_mul_f32_dpp v191, v12, v191 row_newbcast:3 row_mask:0xf bank_mask:0xf// 00000000B0AC: 0B7F7EFA FF01530C
	v_mul_f32_e32 v192, v24, v192                              // 00000000B0B4: 0B818118
	v_mul_f32_e32 v193, v24, v193                              // 00000000B0B8: 0B838318
	v_mul_f32_e32 v194, v24, v194                              // 00000000B0BC: 0B858518
	v_mul_f32_e32 v195, v24, v195                              // 00000000B0C0: 0B878718
	v_mul_f32_dpp v192, v12, v192 row_newbcast:4 row_mask:0xf bank_mask:0xf// 00000000B0C4: 0B8180FA FF01540C
	v_mul_f32_dpp v193, v12, v193 row_newbcast:5 row_mask:0xf bank_mask:0xf// 00000000B0CC: 0B8382FA FF01550C
	v_mul_f32_dpp v194, v12, v194 row_newbcast:6 row_mask:0xf bank_mask:0xf// 00000000B0D4: 0B8584FA FF01560C
	v_mul_f32_dpp v195, v12, v195 row_newbcast:7 row_mask:0xf bank_mask:0xf// 00000000B0DC: 0B8786FA FF01570C
	v_mul_f32_e32 v196, v25, v196                              // 00000000B0E4: 0B898919
	v_mul_f32_e32 v197, v25, v197                              // 00000000B0E8: 0B8B8B19
	v_mul_f32_e32 v198, v25, v198                              // 00000000B0EC: 0B8D8D19
	v_mul_f32_e32 v199, v25, v199                              // 00000000B0F0: 0B8F8F19
	v_mul_f32_dpp v196, v12, v196 row_newbcast:4 row_mask:0xf bank_mask:0xf// 00000000B0F4: 0B8988FA FF01540C
	v_mul_f32_dpp v197, v12, v197 row_newbcast:5 row_mask:0xf bank_mask:0xf// 00000000B0FC: 0B8B8AFA FF01550C
	v_mul_f32_dpp v198, v12, v198 row_newbcast:6 row_mask:0xf bank_mask:0xf// 00000000B104: 0B8D8CFA FF01560C
	v_mul_f32_dpp v199, v12, v199 row_newbcast:7 row_mask:0xf bank_mask:0xf// 00000000B10C: 0B8F8EFA FF01570C
	v_mul_f32_e32 v200, v24, v200                              // 00000000B114: 0B919118
	v_mul_f32_e32 v201, v24, v201                              // 00000000B118: 0B939318
	v_mul_f32_e32 v202, v24, v202                              // 00000000B11C: 0B959518
	v_mul_f32_e32 v203, v24, v203                              // 00000000B120: 0B979718
	v_mul_f32_dpp v200, v12, v200 row_newbcast:8 row_mask:0xf bank_mask:0xf// 00000000B124: 0B9190FA FF01580C
	v_mul_f32_dpp v201, v12, v201 row_newbcast:9 row_mask:0xf bank_mask:0xf// 00000000B12C: 0B9392FA FF01590C
	v_mul_f32_dpp v202, v12, v202 row_newbcast:10 row_mask:0xf bank_mask:0xf// 00000000B134: 0B9594FA FF015A0C
	v_mul_f32_dpp v203, v12, v203 row_newbcast:11 row_mask:0xf bank_mask:0xf// 00000000B13C: 0B9796FA FF015B0C
	v_mul_f32_e32 v204, v25, v204                              // 00000000B144: 0B999919
	v_mul_f32_e32 v205, v25, v205                              // 00000000B148: 0B9B9B19
	v_mul_f32_e32 v206, v25, v206                              // 00000000B14C: 0B9D9D19
	v_mul_f32_e32 v207, v25, v207                              // 00000000B150: 0B9F9F19
	v_mul_f32_dpp v204, v12, v204 row_newbcast:8 row_mask:0xf bank_mask:0xf// 00000000B154: 0B9998FA FF01580C
	v_mul_f32_dpp v205, v12, v205 row_newbcast:9 row_mask:0xf bank_mask:0xf// 00000000B15C: 0B9B9AFA FF01590C
	v_mul_f32_dpp v206, v12, v206 row_newbcast:10 row_mask:0xf bank_mask:0xf// 00000000B164: 0B9D9CFA FF015A0C
	v_mul_f32_dpp v207, v12, v207 row_newbcast:11 row_mask:0xf bank_mask:0xf// 00000000B16C: 0B9F9EFA FF015B0C
	v_mul_f32_e32 v208, v24, v208                              // 00000000B174: 0BA1A118
	v_mul_f32_e32 v209, v24, v209                              // 00000000B178: 0BA3A318
	v_mul_f32_e32 v210, v24, v210                              // 00000000B17C: 0BA5A518
	v_mul_f32_e32 v211, v24, v211                              // 00000000B180: 0BA7A718
	v_mul_f32_dpp v208, v12, v208 row_newbcast:12 row_mask:0xf bank_mask:0xf// 00000000B184: 0BA1A0FA FF015C0C
	v_mul_f32_dpp v209, v12, v209 row_newbcast:13 row_mask:0xf bank_mask:0xf// 00000000B18C: 0BA3A2FA FF015D0C
	v_mul_f32_dpp v210, v12, v210 row_newbcast:14 row_mask:0xf bank_mask:0xf// 00000000B194: 0BA5A4FA FF015E0C
	v_mul_f32_dpp v211, v12, v211 row_newbcast:15 row_mask:0xf bank_mask:0xf// 00000000B19C: 0BA7A6FA FF015F0C
	v_mul_f32_e32 v212, v25, v212                              // 00000000B1A4: 0BA9A919
	v_mul_f32_e32 v213, v25, v213                              // 00000000B1A8: 0BABAB19
	v_mul_f32_e32 v214, v25, v214                              // 00000000B1AC: 0BADAD19
	v_mul_f32_e32 v215, v25, v215                              // 00000000B1B0: 0BAFAF19
	v_mul_f32_dpp v212, v12, v212 row_newbcast:12 row_mask:0xf bank_mask:0xf// 00000000B1B4: 0BA9A8FA FF015C0C
	v_mul_f32_dpp v213, v12, v213 row_newbcast:13 row_mask:0xf bank_mask:0xf// 00000000B1BC: 0BABAAFA FF015D0C
	v_mul_f32_dpp v214, v12, v214 row_newbcast:14 row_mask:0xf bank_mask:0xf// 00000000B1C4: 0BADACFA FF015E0C
	v_mul_f32_dpp v215, v12, v215 row_newbcast:15 row_mask:0xf bank_mask:0xf// 00000000B1CC: 0BAFAEFA FF015F0C
	v_cmp_u_f32_e64 s[48:49], v184, v184                       // 00000000B1D4: D0480030 000371B8
	v_add3_u32 v45, v184, v48, 1                               // 00000000B1DC: D1FF002D 020661B8
	v_cndmask_b32_e64 v52, v45, v47, s[48:49]                  // 00000000B1E4: D1000034 00C25F2D
	v_cmp_u_f32_e64 s[48:49], v185, v185                       // 00000000B1EC: D0480030 000373B9
	v_add3_u32 v45, v185, v48, 1                               // 00000000B1F4: D1FF002D 020661B9
	v_cndmask_b32_e64 v53, v45, v47, s[48:49]                  // 00000000B1FC: D1000035 00C25F2D
	v_perm_b32 v184, v53, v52, s52                             // 00000000B204: D1ED00B8 00D26935
	v_cmp_u_f32_e64 s[48:49], v186, v186                       // 00000000B20C: D0480030 000375BA
	v_add3_u32 v45, v186, v48, 1                               // 00000000B214: D1FF002D 020661BA
	v_cndmask_b32_e64 v52, v45, v47, s[48:49]                  // 00000000B21C: D1000034 00C25F2D
	v_cmp_u_f32_e64 s[48:49], v187, v187                       // 00000000B224: D0480030 000377BB
	v_add3_u32 v45, v187, v48, 1                               // 00000000B22C: D1FF002D 020661BB
	v_cndmask_b32_e64 v53, v45, v47, s[48:49]                  // 00000000B234: D1000035 00C25F2D
	v_perm_b32 v185, v53, v52, s52                             // 00000000B23C: D1ED00B9 00D26935
	v_cmp_u_f32_e64 s[48:49], v188, v188                       // 00000000B244: D0480030 000379BC
	v_add3_u32 v45, v188, v48, 1                               // 00000000B24C: D1FF002D 020661BC
	v_cndmask_b32_e64 v52, v45, v47, s[48:49]                  // 00000000B254: D1000034 00C25F2D
	v_cmp_u_f32_e64 s[48:49], v189, v189                       // 00000000B25C: D0480030 00037BBD
	v_add3_u32 v45, v189, v48, 1                               // 00000000B264: D1FF002D 020661BD
	v_cndmask_b32_e64 v53, v45, v47, s[48:49]                  // 00000000B26C: D1000035 00C25F2D
	v_perm_b32 v186, v53, v52, s52                             // 00000000B274: D1ED00BA 00D26935
	v_cmp_u_f32_e64 s[48:49], v190, v190                       // 00000000B27C: D0480030 00037DBE
	v_add3_u32 v45, v190, v48, 1                               // 00000000B284: D1FF002D 020661BE
	v_cndmask_b32_e64 v52, v45, v47, s[48:49]                  // 00000000B28C: D1000034 00C25F2D
	v_cmp_u_f32_e64 s[48:49], v191, v191                       // 00000000B294: D0480030 00037FBF
	v_add3_u32 v45, v191, v48, 1                               // 00000000B29C: D1FF002D 020661BF
	v_cndmask_b32_e64 v53, v45, v47, s[48:49]                  // 00000000B2A4: D1000035 00C25F2D
	v_perm_b32 v187, v53, v52, s52                             // 00000000B2AC: D1ED00BB 00D26935
	v_cmp_u_f32_e64 s[48:49], v192, v192                       // 00000000B2B4: D0480030 000381C0
	v_add3_u32 v45, v192, v48, 1                               // 00000000B2BC: D1FF002D 020661C0
	v_cndmask_b32_e64 v52, v45, v47, s[48:49]                  // 00000000B2C4: D1000034 00C25F2D
	v_cmp_u_f32_e64 s[48:49], v193, v193                       // 00000000B2CC: D0480030 000383C1
	v_add3_u32 v45, v193, v48, 1                               // 00000000B2D4: D1FF002D 020661C1
	v_cndmask_b32_e64 v53, v45, v47, s[48:49]                  // 00000000B2DC: D1000035 00C25F2D
	v_perm_b32 v188, v53, v52, s52                             // 00000000B2E4: D1ED00BC 00D26935
	v_cmp_u_f32_e64 s[48:49], v194, v194                       // 00000000B2EC: D0480030 000385C2
	v_add3_u32 v45, v194, v48, 1                               // 00000000B2F4: D1FF002D 020661C2
	v_cndmask_b32_e64 v52, v45, v47, s[48:49]                  // 00000000B2FC: D1000034 00C25F2D
	v_cmp_u_f32_e64 s[48:49], v195, v195                       // 00000000B304: D0480030 000387C3
	v_add3_u32 v45, v195, v48, 1                               // 00000000B30C: D1FF002D 020661C3
	v_cndmask_b32_e64 v53, v45, v47, s[48:49]                  // 00000000B314: D1000035 00C25F2D
	v_perm_b32 v189, v53, v52, s52                             // 00000000B31C: D1ED00BD 00D26935
	v_cmp_u_f32_e64 s[48:49], v196, v196                       // 00000000B324: D0480030 000389C4
	v_add3_u32 v45, v196, v48, 1                               // 00000000B32C: D1FF002D 020661C4
	v_cndmask_b32_e64 v52, v45, v47, s[48:49]                  // 00000000B334: D1000034 00C25F2D
	v_cmp_u_f32_e64 s[48:49], v197, v197                       // 00000000B33C: D0480030 00038BC5
	v_add3_u32 v45, v197, v48, 1                               // 00000000B344: D1FF002D 020661C5
	v_cndmask_b32_e64 v53, v45, v47, s[48:49]                  // 00000000B34C: D1000035 00C25F2D
	v_perm_b32 v190, v53, v52, s52                             // 00000000B354: D1ED00BE 00D26935
	v_cmp_u_f32_e64 s[48:49], v198, v198                       // 00000000B35C: D0480030 00038DC6
	v_add3_u32 v45, v198, v48, 1                               // 00000000B364: D1FF002D 020661C6
	v_cndmask_b32_e64 v52, v45, v47, s[48:49]                  // 00000000B36C: D1000034 00C25F2D
	v_cmp_u_f32_e64 s[48:49], v199, v199                       // 00000000B374: D0480030 00038FC7
	v_add3_u32 v45, v199, v48, 1                               // 00000000B37C: D1FF002D 020661C7
	v_cndmask_b32_e64 v53, v45, v47, s[48:49]                  // 00000000B384: D1000035 00C25F2D
	v_perm_b32 v191, v53, v52, s52                             // 00000000B38C: D1ED00BF 00D26935
	v_cmp_u_f32_e64 s[48:49], v200, v200                       // 00000000B394: D0480030 000391C8
	v_add3_u32 v45, v200, v48, 1                               // 00000000B39C: D1FF002D 020661C8
	v_cndmask_b32_e64 v52, v45, v47, s[48:49]                  // 00000000B3A4: D1000034 00C25F2D
	v_cmp_u_f32_e64 s[48:49], v201, v201                       // 00000000B3AC: D0480030 000393C9
	v_add3_u32 v45, v201, v48, 1                               // 00000000B3B4: D1FF002D 020661C9
	v_cndmask_b32_e64 v53, v45, v47, s[48:49]                  // 00000000B3BC: D1000035 00C25F2D
	v_perm_b32 v192, v53, v52, s52                             // 00000000B3C4: D1ED00C0 00D26935
	v_cmp_u_f32_e64 s[48:49], v202, v202                       // 00000000B3CC: D0480030 000395CA
	v_add3_u32 v45, v202, v48, 1                               // 00000000B3D4: D1FF002D 020661CA
	v_cndmask_b32_e64 v52, v45, v47, s[48:49]                  // 00000000B3DC: D1000034 00C25F2D
	v_cmp_u_f32_e64 s[48:49], v203, v203                       // 00000000B3E4: D0480030 000397CB
	v_add3_u32 v45, v203, v48, 1                               // 00000000B3EC: D1FF002D 020661CB
	v_cndmask_b32_e64 v53, v45, v47, s[48:49]                  // 00000000B3F4: D1000035 00C25F2D
	v_perm_b32 v193, v53, v52, s52                             // 00000000B3FC: D1ED00C1 00D26935
	v_cmp_u_f32_e64 s[48:49], v204, v204                       // 00000000B404: D0480030 000399CC
	v_add3_u32 v45, v204, v48, 1                               // 00000000B40C: D1FF002D 020661CC
	v_cndmask_b32_e64 v52, v45, v47, s[48:49]                  // 00000000B414: D1000034 00C25F2D
	v_cmp_u_f32_e64 s[48:49], v205, v205                       // 00000000B41C: D0480030 00039BCD
	v_add3_u32 v45, v205, v48, 1                               // 00000000B424: D1FF002D 020661CD
	v_cndmask_b32_e64 v53, v45, v47, s[48:49]                  // 00000000B42C: D1000035 00C25F2D
	v_perm_b32 v194, v53, v52, s52                             // 00000000B434: D1ED00C2 00D26935
	v_cmp_u_f32_e64 s[48:49], v206, v206                       // 00000000B43C: D0480030 00039DCE
	v_add3_u32 v45, v206, v48, 1                               // 00000000B444: D1FF002D 020661CE
	v_cndmask_b32_e64 v52, v45, v47, s[48:49]                  // 00000000B44C: D1000034 00C25F2D
	v_cmp_u_f32_e64 s[48:49], v207, v207                       // 00000000B454: D0480030 00039FCF
	v_add3_u32 v45, v207, v48, 1                               // 00000000B45C: D1FF002D 020661CF
	v_cndmask_b32_e64 v53, v45, v47, s[48:49]                  // 00000000B464: D1000035 00C25F2D
	v_perm_b32 v195, v53, v52, s52                             // 00000000B46C: D1ED00C3 00D26935
	v_cmp_u_f32_e64 s[48:49], v208, v208                       // 00000000B474: D0480030 0003A1D0
	v_add3_u32 v45, v208, v48, 1                               // 00000000B47C: D1FF002D 020661D0
	v_cndmask_b32_e64 v52, v45, v47, s[48:49]                  // 00000000B484: D1000034 00C25F2D
	v_cmp_u_f32_e64 s[48:49], v209, v209                       // 00000000B48C: D0480030 0003A3D1
	v_add3_u32 v45, v209, v48, 1                               // 00000000B494: D1FF002D 020661D1
	v_cndmask_b32_e64 v53, v45, v47, s[48:49]                  // 00000000B49C: D1000035 00C25F2D
	v_perm_b32 v196, v53, v52, s52                             // 00000000B4A4: D1ED00C4 00D26935
	v_cmp_u_f32_e64 s[48:49], v210, v210                       // 00000000B4AC: D0480030 0003A5D2
	v_add3_u32 v45, v210, v48, 1                               // 00000000B4B4: D1FF002D 020661D2
	v_cndmask_b32_e64 v52, v45, v47, s[48:49]                  // 00000000B4BC: D1000034 00C25F2D
	v_cmp_u_f32_e64 s[48:49], v211, v211                       // 00000000B4C4: D0480030 0003A7D3
	v_add3_u32 v45, v211, v48, 1                               // 00000000B4CC: D1FF002D 020661D3
	v_cndmask_b32_e64 v53, v45, v47, s[48:49]                  // 00000000B4D4: D1000035 00C25F2D
	v_perm_b32 v197, v53, v52, s52                             // 00000000B4DC: D1ED00C5 00D26935
	v_cmp_u_f32_e64 s[48:49], v212, v212                       // 00000000B4E4: D0480030 0003A9D4
	v_add3_u32 v45, v212, v48, 1                               // 00000000B4EC: D1FF002D 020661D4
	v_cndmask_b32_e64 v52, v45, v47, s[48:49]                  // 00000000B4F4: D1000034 00C25F2D
	v_cmp_u_f32_e64 s[48:49], v213, v213                       // 00000000B4FC: D0480030 0003ABD5
	v_add3_u32 v45, v213, v48, 1                               // 00000000B504: D1FF002D 020661D5
	v_cndmask_b32_e64 v53, v45, v47, s[48:49]                  // 00000000B50C: D1000035 00C25F2D
	v_perm_b32 v198, v53, v52, s52                             // 00000000B514: D1ED00C6 00D26935
	v_cmp_u_f32_e64 s[48:49], v214, v214                       // 00000000B51C: D0480030 0003ADD6
	v_add3_u32 v45, v214, v48, 1                               // 00000000B524: D1FF002D 020661D6
	v_cndmask_b32_e64 v52, v45, v47, s[48:49]                  // 00000000B52C: D1000034 00C25F2D
	v_cmp_u_f32_e64 s[48:49], v215, v215                       // 00000000B534: D0480030 0003AFD7
	v_add3_u32 v45, v215, v48, 1                               // 00000000B53C: D1FF002D 020661D7
	v_cndmask_b32_e64 v53, v45, v47, s[48:49]                  // 00000000B544: D1000035 00C25F2D
	v_perm_b32 v199, v53, v52, s52                             // 00000000B54C: D1ED00C7 00D26935
	ds_write_b64 v3, v[184:185] offset:33024                   // 00000000B554: D89A8100 0000B803
	ds_write_b64 v3, v[186:187] offset:41728                   // 00000000B55C: D89AA300 0000BA03
	ds_write_b64 v3, v[188:189] offset:35200                   // 00000000B564: D89A8980 0000BC03
	ds_write_b64 v3, v[190:191] offset:43904                   // 00000000B56C: D89AAB80 0000BE03
	ds_write_b64 v3, v[192:193] offset:37376                   // 00000000B574: D89A9200 0000C003
	ds_write_b64 v3, v[194:195] offset:46080                   // 00000000B57C: D89AB400 0000C203
	ds_write_b64 v3, v[196:197] offset:39552                   // 00000000B584: D89A9A80 0000C403
	ds_write_b64 v3, v[198:199] offset:48256                   // 00000000B58C: D89ABC80 0000C603
	s_waitcnt lgkmcnt(0)                                       // 00000000B594: BF8CC07F
	s_barrier                                                  // 00000000B598: BF8A0000
	ds_read_b32 v64, v4 offset:33024                           // 00000000B59C: D86C8100 40000004
	ds_read_b32 v65, v4 offset:37376                           // 00000000B5A4: D86C9200 41000004
	ds_read_b32 v66, v4 offset:33056                           // 00000000B5AC: D86C8120 42000004
	ds_read_b32 v67, v4 offset:37408                           // 00000000B5B4: D86C9220 43000004
	ds_read_b32 v68, v4 offset:33088                           // 00000000B5BC: D86C8140 44000004
	ds_read_b32 v69, v4 offset:37440                           // 00000000B5C4: D86C9240 45000004
	ds_read_b32 v70, v4 offset:33120                           // 00000000B5CC: D86C8160 46000004
	ds_read_b32 v71, v4 offset:37472                           // 00000000B5D4: D86C9260 47000004
	ds_read_b32 v72, v4 offset:41728                           // 00000000B5DC: D86CA300 48000004
	ds_read_b32 v73, v4 offset:46080                           // 00000000B5E4: D86CB400 49000004
	ds_read_b32 v74, v4 offset:41760                           // 00000000B5EC: D86CA320 4A000004
	ds_read_b32 v75, v4 offset:46112                           // 00000000B5F4: D86CB420 4B000004
	ds_read_b32 v76, v4 offset:41792                           // 00000000B5FC: D86CA340 4C000004
	ds_read_b32 v77, v4 offset:46144                           // 00000000B604: D86CB440 4D000004
	ds_read_b32 v78, v4 offset:41824                           // 00000000B60C: D86CA360 4E000004
	ds_read_b32 v79, v4 offset:46176                           // 00000000B614: D86CB460 4F000004
	s_waitcnt lgkmcnt(0)                                       // 00000000B61C: BF8CC07F
	s_mov_b64 exec, s[20:21]                                   // 00000000B620: BEFE0114
	global_atomic_pk_add_f16 v80, v64, s[8:9]                  // 00000000B624: DD388000 00084050
	s_mov_b64 exec, s[36:37]                                   // 00000000B62C: BEFE0124
	s_mov_b64 exec, s[20:21]                                   // 00000000B630: BEFE0114
	global_atomic_pk_add_f16 v80, v65, s[8:9] offset:256       // 00000000B634: DD388100 00084150
	s_mov_b64 exec, s[36:37]                                   // 00000000B63C: BEFE0124
	s_mov_b64 exec, s[22:23]                                   // 00000000B640: BEFE0116
	global_atomic_pk_add_f16 v82, v66, s[8:9]                  // 00000000B644: DD388000 00084252
	s_mov_b64 exec, s[36:37]                                   // 00000000B64C: BEFE0124
	s_mov_b64 exec, s[22:23]                                   // 00000000B650: BEFE0116
	global_atomic_pk_add_f16 v82, v67, s[8:9] offset:256       // 00000000B654: DD388100 00084352
	s_mov_b64 exec, s[36:37]                                   // 00000000B65C: BEFE0124
	s_mov_b64 exec, s[24:25]                                   // 00000000B660: BEFE0118
	global_atomic_pk_add_f16 v84, v68, s[8:9]                  // 00000000B664: DD388000 00084454
	s_mov_b64 exec, s[36:37]                                   // 00000000B66C: BEFE0124
	s_mov_b64 exec, s[24:25]                                   // 00000000B670: BEFE0118
	global_atomic_pk_add_f16 v84, v69, s[8:9] offset:256       // 00000000B674: DD388100 00084554
	s_mov_b64 exec, s[36:37]                                   // 00000000B67C: BEFE0124
	s_mov_b64 exec, s[26:27]                                   // 00000000B680: BEFE011A
	global_atomic_pk_add_f16 v86, v70, s[8:9]                  // 00000000B684: DD388000 00084656
	s_mov_b64 exec, s[36:37]                                   // 00000000B68C: BEFE0124
	s_mov_b64 exec, s[26:27]                                   // 00000000B690: BEFE011A
	global_atomic_pk_add_f16 v86, v71, s[8:9] offset:256       // 00000000B694: DD388100 00084756
	s_mov_b64 exec, s[36:37]                                   // 00000000B69C: BEFE0124
	s_mov_b64 exec, s[28:29]                                   // 00000000B6A0: BEFE011C
	global_atomic_pk_add_f16 v88, v72, s[8:9]                  // 00000000B6A4: DD388000 00084858
	s_mov_b64 exec, s[36:37]                                   // 00000000B6AC: BEFE0124
	s_mov_b64 exec, s[28:29]                                   // 00000000B6B0: BEFE011C
	global_atomic_pk_add_f16 v88, v73, s[8:9] offset:256       // 00000000B6B4: DD388100 00084958
	s_mov_b64 exec, s[36:37]                                   // 00000000B6BC: BEFE0124
	s_mov_b64 exec, s[30:31]                                   // 00000000B6C0: BEFE011E
	global_atomic_pk_add_f16 v90, v74, s[8:9]                  // 00000000B6C4: DD388000 00084A5A
	s_mov_b64 exec, s[36:37]                                   // 00000000B6CC: BEFE0124
	s_mov_b64 exec, s[30:31]                                   // 00000000B6D0: BEFE011E
	global_atomic_pk_add_f16 v90, v75, s[8:9] offset:256       // 00000000B6D4: DD388100 00084B5A
	s_mov_b64 exec, s[36:37]                                   // 00000000B6DC: BEFE0124
	s_mov_b64 exec, s[32:33]                                   // 00000000B6E0: BEFE0120
	global_atomic_pk_add_f16 v92, v76, s[8:9]                  // 00000000B6E4: DD388000 00084C5C
	s_mov_b64 exec, s[36:37]                                   // 00000000B6EC: BEFE0124
	s_mov_b64 exec, s[32:33]                                   // 00000000B6F0: BEFE0120
	global_atomic_pk_add_f16 v92, v77, s[8:9] offset:256       // 00000000B6F4: DD388100 00084D5C
	s_mov_b64 exec, s[36:37]                                   // 00000000B6FC: BEFE0124
	s_mov_b64 exec, s[34:35]                                   // 00000000B700: BEFE0122
	global_atomic_pk_add_f16 v94, v78, s[8:9]                  // 00000000B704: DD388000 00084E5E
	s_mov_b64 exec, s[36:37]                                   // 00000000B70C: BEFE0124
	s_mov_b64 exec, s[34:35]                                   // 00000000B710: BEFE0122
	global_atomic_pk_add_f16 v94, v79, s[8:9] offset:256       // 00000000B714: DD388100 00084F5E
	s_mov_b64 exec, s[36:37]                                   // 00000000B71C: BEFE0124
	s_add_u32 s8, s59, s8                                      // 00000000B720: 8008083B
	s_addc_u32 s9, 0, s9                                       // 00000000B724: 82090980
	s_addk_i32 s80, 0x100                                      // 00000000B728: B7500100
	s_cmp_lt_i32 s80, s81                                      // 00000000B72C: BF045150
	s_cbranch_scc0 label_140E                                  // 00000000B730: BF84F1C1
	s_waitcnt vmcnt(41)                                        // 00000000B734: BF8C8F79
	s_barrier                                                  // 00000000B738: BF8A0000
	v_mfma_f32_16x16x32_fp8_fp8 v[216:219], a[112:113], v[128:129], 0// 00000000B73C: D3F300D8 0A030170
	buffer_load_dwordx4 a[0:3], v41, s[12:15], 0 offen         // 00000000B744: E05C1000 80830029
	v_mfma_f32_16x16x32_fp8_fp8 v[216:219], a[114:115], v[130:131], v[216:219]// 00000000B74C: D3F300D8 0F630572
	v_mfma_f32_16x16x32_fp8_fp8 v[220:223], a[112:113], v[156:157], 0// 00000000B754: D3F300DC 0A033970
	v_mfma_f32_16x16x32_fp8_fp8 v[220:223], a[114:115], v[158:159], v[220:223]// 00000000B75C: D3F300DC 0F733D72
	v_mfma_f32_16x16x32_fp8_fp8 v[224:227], a[116:117], v[128:129], 0// 00000000B764: D3F300E0 0A030174
	buffer_load_dwordx4 a[4:7], v42, s[12:15], 0 offen         // 00000000B76C: E05C1000 8083042A
	v_mfma_f32_16x16x32_fp8_fp8 v[224:227], a[118:119], v[130:131], v[224:227]// 00000000B774: D3F300E0 0F830576
	v_mfma_f32_16x16x32_fp8_fp8 v[228:231], a[116:117], v[156:157], 0// 00000000B77C: D3F300E4 0A033974
	v_mfma_f32_16x16x32_fp8_fp8 v[228:231], a[118:119], v[158:159], v[228:231]// 00000000B784: D3F300E4 0F933D76
	v_mfma_f32_16x16x32_fp8_fp8 v[232:235], a[120:121], v[128:129], 0// 00000000B78C: D3F300E8 0A030178
	buffer_load_dwordx4 a[8:11], v43, s[12:15], 0 offen        // 00000000B794: E05C1000 8083082B
	v_mfma_f32_16x16x32_fp8_fp8 v[232:235], a[122:123], v[130:131], v[232:235]// 00000000B79C: D3F300E8 0FA3057A
	v_mfma_f32_16x16x32_fp8_fp8 v[236:239], a[120:121], v[156:157], 0// 00000000B7A4: D3F300EC 0A033978
	v_mfma_f32_16x16x32_fp8_fp8 v[236:239], a[122:123], v[158:159], v[236:239]// 00000000B7AC: D3F300EC 0FB33D7A
	v_mfma_f32_16x16x32_fp8_fp8 v[240:243], a[124:125], v[128:129], 0// 00000000B7B4: D3F300F0 0A03017C
	buffer_load_dwordx4 a[12:15], v44, s[12:15], 0 offen       // 00000000B7BC: E05C1000 80830C2C
	s_add_u32 s12, s78, s12                                    // 00000000B7C4: 800C0C4E
	s_addc_u32 s13, 0, s13                                     // 00000000B7C8: 820D0D80
	v_mfma_f32_16x16x32_fp8_fp8 v[240:243], a[126:127], v[130:131], v[240:243]// 00000000B7CC: D3F300F0 0FC3057E
	v_mfma_f32_16x16x32_fp8_fp8 v[244:247], a[124:125], v[156:157], 0// 00000000B7D4: D3F300F4 0A03397C
	v_mfma_f32_16x16x32_fp8_fp8 v[244:247], a[126:127], v[158:159], v[244:247]// 00000000B7DC: D3F300F4 0FD33D7E
	s_waitcnt vmcnt(41)                                        // 00000000B7E4: BF8C8F79
	v_mfma_f32_16x16x32_fp8_fp8 v[216:219], a[128:129], v[132:133], v[216:219]// 00000000B7E8: D3F300D8 0F630980
	buffer_load_dwordx4 a[16:19], v41, s[12:15], 0 offen       // 00000000B7F0: E05C1000 80831029
	v_mfma_f32_16x16x32_fp8_fp8 v[216:219], a[130:131], v[134:135], v[216:219]// 00000000B7F8: D3F300D8 0F630D82
	v_mfma_f32_16x16x32_fp8_fp8 v[220:223], a[128:129], v[160:161], v[220:223]// 00000000B800: D3F300DC 0F734180
	v_mfma_f32_16x16x32_fp8_fp8 v[220:223], a[130:131], v[162:163], v[220:223]// 00000000B808: D3F300DC 0F734582
	v_mfma_f32_16x16x32_fp8_fp8 v[224:227], a[132:133], v[132:133], v[224:227]// 00000000B810: D3F300E0 0F830984
	buffer_load_dwordx4 a[20:23], v42, s[12:15], 0 offen       // 00000000B818: E05C1000 8083142A
	v_mfma_f32_16x16x32_fp8_fp8 v[224:227], a[134:135], v[134:135], v[224:227]// 00000000B820: D3F300E0 0F830D86
	v_mfma_f32_16x16x32_fp8_fp8 v[228:231], a[132:133], v[160:161], v[228:231]// 00000000B828: D3F300E4 0F934184
	v_mfma_f32_16x16x32_fp8_fp8 v[228:231], a[134:135], v[162:163], v[228:231]// 00000000B830: D3F300E4 0F934586
	v_mfma_f32_16x16x32_fp8_fp8 v[232:235], a[136:137], v[132:133], v[232:235]// 00000000B838: D3F300E8 0FA30988
	buffer_load_dwordx4 a[24:27], v43, s[12:15], 0 offen       // 00000000B840: E05C1000 8083182B
	v_mfma_f32_16x16x32_fp8_fp8 v[232:235], a[138:139], v[134:135], v[232:235]// 00000000B848: D3F300E8 0FA30D8A
	v_mfma_f32_16x16x32_fp8_fp8 v[236:239], a[136:137], v[160:161], v[236:239]// 00000000B850: D3F300EC 0FB34188
	v_mfma_f32_16x16x32_fp8_fp8 v[236:239], a[138:139], v[162:163], v[236:239]// 00000000B858: D3F300EC 0FB3458A
	v_mfma_f32_16x16x32_fp8_fp8 v[240:243], a[140:141], v[132:133], v[240:243]// 00000000B860: D3F300F0 0FC3098C
	buffer_load_dwordx4 a[28:31], v44, s[12:15], 0 offen       // 00000000B868: E05C1000 80831C2C
	s_add_u32 s12, s78, s12                                    // 00000000B870: 800C0C4E
	s_addc_u32 s13, 0, s13                                     // 00000000B874: 820D0D80
	v_mfma_f32_16x16x32_fp8_fp8 v[240:243], a[142:143], v[134:135], v[240:243]// 00000000B878: D3F300F0 0FC30D8E
	v_mfma_f32_16x16x32_fp8_fp8 v[244:247], a[140:141], v[160:161], v[244:247]// 00000000B880: D3F300F4 0FD3418C
	v_mfma_f32_16x16x32_fp8_fp8 v[244:247], a[142:143], v[162:163], v[244:247]// 00000000B888: D3F300F4 0FD3458E
	s_waitcnt vmcnt(41)                                        // 00000000B890: BF8C8F79
	v_mfma_f32_16x16x32_fp8_fp8 v[216:219], a[144:145], v[136:137], v[216:219]// 00000000B894: D3F300D8 0F631190
	buffer_load_dwordx4 a[32:35], v41, s[12:15], 0 offen       // 00000000B89C: E05C1000 80832029
	v_mfma_f32_16x16x32_fp8_fp8 v[216:219], a[146:147], v[138:139], v[216:219]// 00000000B8A4: D3F300D8 0F631592
	v_mfma_f32_16x16x32_fp8_fp8 v[220:223], a[144:145], v[164:165], v[220:223]// 00000000B8AC: D3F300DC 0F734990
	v_mfma_f32_16x16x32_fp8_fp8 v[220:223], a[146:147], v[166:167], v[220:223]// 00000000B8B4: D3F300DC 0F734D92
	v_mfma_f32_16x16x32_fp8_fp8 v[224:227], a[148:149], v[136:137], v[224:227]// 00000000B8BC: D3F300E0 0F831194
	buffer_load_dwordx4 a[36:39], v42, s[12:15], 0 offen       // 00000000B8C4: E05C1000 8083242A
	v_mfma_f32_16x16x32_fp8_fp8 v[224:227], a[150:151], v[138:139], v[224:227]// 00000000B8CC: D3F300E0 0F831596
	v_mfma_f32_16x16x32_fp8_fp8 v[228:231], a[148:149], v[164:165], v[228:231]// 00000000B8D4: D3F300E4 0F934994
	v_mfma_f32_16x16x32_fp8_fp8 v[228:231], a[150:151], v[166:167], v[228:231]// 00000000B8DC: D3F300E4 0F934D96
	v_mfma_f32_16x16x32_fp8_fp8 v[232:235], a[152:153], v[136:137], v[232:235]// 00000000B8E4: D3F300E8 0FA31198
	buffer_load_dwordx4 a[40:43], v43, s[12:15], 0 offen       // 00000000B8EC: E05C1000 8083282B
	v_mfma_f32_16x16x32_fp8_fp8 v[232:235], a[154:155], v[138:139], v[232:235]// 00000000B8F4: D3F300E8 0FA3159A
	v_mfma_f32_16x16x32_fp8_fp8 v[236:239], a[152:153], v[164:165], v[236:239]// 00000000B8FC: D3F300EC 0FB34998
	v_mfma_f32_16x16x32_fp8_fp8 v[236:239], a[154:155], v[166:167], v[236:239]// 00000000B904: D3F300EC 0FB34D9A
	v_mfma_f32_16x16x32_fp8_fp8 v[240:243], a[156:157], v[136:137], v[240:243]// 00000000B90C: D3F300F0 0FC3119C
	buffer_load_dwordx4 a[44:47], v44, s[12:15], 0 offen       // 00000000B914: E05C1000 80832C2C
	s_add_u32 s12, s78, s12                                    // 00000000B91C: 800C0C4E
	s_addc_u32 s13, 0, s13                                     // 00000000B920: 820D0D80
	v_mfma_f32_16x16x32_fp8_fp8 v[240:243], a[158:159], v[138:139], v[240:243]// 00000000B924: D3F300F0 0FC3159E
	v_mfma_f32_16x16x32_fp8_fp8 v[244:247], a[156:157], v[164:165], v[244:247]// 00000000B92C: D3F300F4 0FD3499C
	v_mfma_f32_16x16x32_fp8_fp8 v[244:247], a[158:159], v[166:167], v[244:247]// 00000000B934: D3F300F4 0FD34D9E
	s_waitcnt vmcnt(41)                                        // 00000000B93C: BF8C8F79
	v_mfma_f32_16x16x32_fp8_fp8 v[216:219], a[160:161], v[140:141], v[216:219]// 00000000B940: D3F300D8 0F6319A0
	buffer_load_dwordx4 a[48:51], v41, s[12:15], 0 offen       // 00000000B948: E05C1000 80833029
	v_mfma_f32_16x16x32_fp8_fp8 v[216:219], a[162:163], v[142:143], v[216:219]// 00000000B950: D3F300D8 0F631DA2
	v_mfma_f32_16x16x32_fp8_fp8 v[220:223], a[160:161], v[168:169], v[220:223]// 00000000B958: D3F300DC 0F7351A0
	v_mfma_f32_16x16x32_fp8_fp8 v[220:223], a[162:163], v[170:171], v[220:223]// 00000000B960: D3F300DC 0F7355A2
	v_mfma_f32_16x16x32_fp8_fp8 v[224:227], a[164:165], v[140:141], v[224:227]// 00000000B968: D3F300E0 0F8319A4
	buffer_load_dwordx4 a[52:55], v42, s[12:15], 0 offen       // 00000000B970: E05C1000 8083342A
	v_mfma_f32_16x16x32_fp8_fp8 v[224:227], a[166:167], v[142:143], v[224:227]// 00000000B978: D3F300E0 0F831DA6
	v_mfma_f32_16x16x32_fp8_fp8 v[228:231], a[164:165], v[168:169], v[228:231]// 00000000B980: D3F300E4 0F9351A4
	v_mfma_f32_16x16x32_fp8_fp8 v[228:231], a[166:167], v[170:171], v[228:231]// 00000000B988: D3F300E4 0F9355A6
	v_mfma_f32_16x16x32_fp8_fp8 v[232:235], a[168:169], v[140:141], v[232:235]// 00000000B990: D3F300E8 0FA319A8
	buffer_load_dwordx4 a[56:59], v43, s[12:15], 0 offen       // 00000000B998: E05C1000 8083382B
	v_mfma_f32_16x16x32_fp8_fp8 v[232:235], a[170:171], v[142:143], v[232:235]// 00000000B9A0: D3F300E8 0FA31DAA
	v_mfma_f32_16x16x32_fp8_fp8 v[236:239], a[168:169], v[168:169], v[236:239]// 00000000B9A8: D3F300EC 0FB351A8
	v_mfma_f32_16x16x32_fp8_fp8 v[236:239], a[170:171], v[170:171], v[236:239]// 00000000B9B0: D3F300EC 0FB355AA
	v_mfma_f32_16x16x32_fp8_fp8 v[240:243], a[172:173], v[140:141], v[240:243]// 00000000B9B8: D3F300F0 0FC319AC
	buffer_load_dwordx4 a[60:63], v44, s[12:15], 0 offen       // 00000000B9C0: E05C1000 80833C2C
	s_add_u32 s12, s78, s12                                    // 00000000B9C8: 800C0C4E
	s_addc_u32 s13, 0, s13                                     // 00000000B9CC: 820D0D80
	v_mfma_f32_16x16x32_fp8_fp8 v[240:243], a[174:175], v[142:143], v[240:243]// 00000000B9D0: D3F300F0 0FC31DAE
	v_mfma_f32_16x16x32_fp8_fp8 v[244:247], a[172:173], v[168:169], v[244:247]// 00000000B9D8: D3F300F4 0FD351AC
	v_mfma_f32_16x16x32_fp8_fp8 v[244:247], a[174:175], v[170:171], v[244:247]// 00000000B9E0: D3F300F4 0FD355AE
	s_waitcnt vmcnt(41)                                        // 00000000B9E8: BF8C8F79
	v_mfma_f32_16x16x32_fp8_fp8 v[216:219], a[176:177], v[144:145], v[216:219]// 00000000B9EC: D3F300D8 0F6321B0
	buffer_load_dwordx4 a[64:67], v41, s[12:15], 0 offen       // 00000000B9F4: E05C1000 80834029
	v_mfma_f32_16x16x32_fp8_fp8 v[216:219], a[178:179], v[146:147], v[216:219]// 00000000B9FC: D3F300D8 0F6325B2
	v_mfma_f32_16x16x32_fp8_fp8 v[220:223], a[176:177], v[172:173], v[220:223]// 00000000BA04: D3F300DC 0F7359B0
	v_mfma_f32_16x16x32_fp8_fp8 v[220:223], a[178:179], v[174:175], v[220:223]// 00000000BA0C: D3F300DC 0F735DB2
	v_mfma_f32_16x16x32_fp8_fp8 v[224:227], a[180:181], v[144:145], v[224:227]// 00000000BA14: D3F300E0 0F8321B4
	buffer_load_dwordx4 a[68:71], v42, s[12:15], 0 offen       // 00000000BA1C: E05C1000 8083442A
	v_mfma_f32_16x16x32_fp8_fp8 v[224:227], a[182:183], v[146:147], v[224:227]// 00000000BA24: D3F300E0 0F8325B6
	v_mfma_f32_16x16x32_fp8_fp8 v[228:231], a[180:181], v[172:173], v[228:231]// 00000000BA2C: D3F300E4 0F9359B4
	v_mfma_f32_16x16x32_fp8_fp8 v[228:231], a[182:183], v[174:175], v[228:231]// 00000000BA34: D3F300E4 0F935DB6
	v_mfma_f32_16x16x32_fp8_fp8 v[232:235], a[184:185], v[144:145], v[232:235]// 00000000BA3C: D3F300E8 0FA321B8
	buffer_load_dwordx4 a[72:75], v43, s[12:15], 0 offen       // 00000000BA44: E05C1000 8083482B
	v_mfma_f32_16x16x32_fp8_fp8 v[232:235], a[186:187], v[146:147], v[232:235]// 00000000BA4C: D3F300E8 0FA325BA
	v_mfma_f32_16x16x32_fp8_fp8 v[236:239], a[184:185], v[172:173], v[236:239]// 00000000BA54: D3F300EC 0FB359B8
	v_mfma_f32_16x16x32_fp8_fp8 v[236:239], a[186:187], v[174:175], v[236:239]// 00000000BA5C: D3F300EC 0FB35DBA
	v_mfma_f32_16x16x32_fp8_fp8 v[240:243], a[188:189], v[144:145], v[240:243]// 00000000BA64: D3F300F0 0FC321BC
	buffer_load_dwordx4 a[76:79], v44, s[12:15], 0 offen       // 00000000BA6C: E05C1000 80834C2C
	s_add_u32 s12, s78, s12                                    // 00000000BA74: 800C0C4E
	s_addc_u32 s13, 0, s13                                     // 00000000BA78: 820D0D80
	v_mfma_f32_16x16x32_fp8_fp8 v[240:243], a[190:191], v[146:147], v[240:243]// 00000000BA7C: D3F300F0 0FC325BE
	v_mfma_f32_16x16x32_fp8_fp8 v[244:247], a[188:189], v[172:173], v[244:247]// 00000000BA84: D3F300F4 0FD359BC
	v_mfma_f32_16x16x32_fp8_fp8 v[244:247], a[190:191], v[174:175], v[244:247]// 00000000BA8C: D3F300F4 0FD35DBE
	s_waitcnt vmcnt(41)                                        // 00000000BA94: BF8C8F79
	v_mfma_f32_16x16x32_fp8_fp8 v[216:219], a[192:193], v[148:149], v[216:219]// 00000000BA98: D3F300D8 0F6329C0
	buffer_load_dwordx4 a[80:83], v41, s[12:15], 0 offen       // 00000000BAA0: E05C1000 80835029
	v_mfma_f32_16x16x32_fp8_fp8 v[216:219], a[194:195], v[150:151], v[216:219]// 00000000BAA8: D3F300D8 0F632DC2
	v_mfma_f32_16x16x32_fp8_fp8 v[220:223], a[192:193], v[176:177], v[220:223]// 00000000BAB0: D3F300DC 0F7361C0
	v_mfma_f32_16x16x32_fp8_fp8 v[220:223], a[194:195], v[178:179], v[220:223]// 00000000BAB8: D3F300DC 0F7365C2
	v_mfma_f32_16x16x32_fp8_fp8 v[224:227], a[196:197], v[148:149], v[224:227]// 00000000BAC0: D3F300E0 0F8329C4
	buffer_load_dwordx4 a[84:87], v42, s[12:15], 0 offen       // 00000000BAC8: E05C1000 8083542A
	v_mfma_f32_16x16x32_fp8_fp8 v[224:227], a[198:199], v[150:151], v[224:227]// 00000000BAD0: D3F300E0 0F832DC6
	v_mfma_f32_16x16x32_fp8_fp8 v[228:231], a[196:197], v[176:177], v[228:231]// 00000000BAD8: D3F300E4 0F9361C4
	v_mfma_f32_16x16x32_fp8_fp8 v[228:231], a[198:199], v[178:179], v[228:231]// 00000000BAE0: D3F300E4 0F9365C6
	v_mfma_f32_16x16x32_fp8_fp8 v[232:235], a[200:201], v[148:149], v[232:235]// 00000000BAE8: D3F300E8 0FA329C8
	buffer_load_dwordx4 a[88:91], v43, s[12:15], 0 offen       // 00000000BAF0: E05C1000 8083582B
	v_mfma_f32_16x16x32_fp8_fp8 v[232:235], a[202:203], v[150:151], v[232:235]// 00000000BAF8: D3F300E8 0FA32DCA
	v_mfma_f32_16x16x32_fp8_fp8 v[236:239], a[200:201], v[176:177], v[236:239]// 00000000BB00: D3F300EC 0FB361C8
	v_mfma_f32_16x16x32_fp8_fp8 v[236:239], a[202:203], v[178:179], v[236:239]// 00000000BB08: D3F300EC 0FB365CA
	v_mfma_f32_16x16x32_fp8_fp8 v[240:243], a[204:205], v[148:149], v[240:243]// 00000000BB10: D3F300F0 0FC329CC
	buffer_load_dwordx4 a[92:95], v44, s[12:15], 0 offen       // 00000000BB18: E05C1000 80835C2C
	s_add_u32 s12, s78, s12                                    // 00000000BB20: 800C0C4E
	s_addc_u32 s13, 0, s13                                     // 00000000BB24: 820D0D80
	v_mfma_f32_16x16x32_fp8_fp8 v[240:243], a[206:207], v[150:151], v[240:243]// 00000000BB28: D3F300F0 0FC32DCE
	v_mfma_f32_16x16x32_fp8_fp8 v[244:247], a[204:205], v[176:177], v[244:247]// 00000000BB30: D3F300F4 0FD361CC
	v_mfma_f32_16x16x32_fp8_fp8 v[244:247], a[206:207], v[178:179], v[244:247]// 00000000BB38: D3F300F4 0FD365CE
	s_waitcnt vmcnt(40)                                        // 00000000BB40: BF8C8F78
	v_mfma_f32_16x16x32_fp8_fp8 v[216:219], a[208:209], v[152:153], v[216:219]// 00000000BB44: D3F300D8 0F6331D0
	buffer_load_dwordx4 a[96:99], v41, s[12:15], 0 offen       // 00000000BB4C: E05C1000 80836029
	v_mfma_f32_16x16x32_fp8_fp8 v[216:219], a[210:211], v[154:155], v[216:219]// 00000000BB54: D3F300D8 0F6335D2
	v_mfma_f32_16x16x32_fp8_fp8 v[220:223], a[208:209], v[180:181], v[220:223]// 00000000BB5C: D3F300DC 0F7369D0
	buffer_load_dword v12, v5, s[16:19], 0 offen               // 00000000BB64: E0501000 80040C05
	v_mfma_f32_16x16x32_fp8_fp8 v[220:223], a[210:211], v[182:183], v[220:223]// 00000000BB6C: D3F300DC 0F736DD2
	v_mfma_f32_16x16x32_fp8_fp8 v[224:227], a[212:213], v[152:153], v[224:227]// 00000000BB74: D3F300E0 0F8331D4
	buffer_load_dwordx4 a[100:103], v42, s[12:15], 0 offen     // 00000000BB7C: E05C1000 8083642A
	v_mfma_f32_16x16x32_fp8_fp8 v[224:227], a[214:215], v[154:155], v[224:227]// 00000000BB84: D3F300E0 0F8335D6
	v_mfma_f32_16x16x32_fp8_fp8 v[228:231], a[212:213], v[180:181], v[228:231]// 00000000BB8C: D3F300E4 0F9369D4
	v_mfma_f32_16x16x32_fp8_fp8 v[228:231], a[214:215], v[182:183], v[228:231]// 00000000BB94: D3F300E4 0F936DD6
	v_mfma_f32_16x16x32_fp8_fp8 v[232:235], a[216:217], v[152:153], v[232:235]// 00000000BB9C: D3F300E8 0FA331D8
	buffer_load_dwordx4 a[104:107], v43, s[12:15], 0 offen     // 00000000BBA4: E05C1000 8083682B
	v_mfma_f32_16x16x32_fp8_fp8 v[232:235], a[218:219], v[154:155], v[232:235]// 00000000BBAC: D3F300E8 0FA335DA
	v_mfma_f32_16x16x32_fp8_fp8 v[236:239], a[216:217], v[180:181], v[236:239]// 00000000BBB4: D3F300EC 0FB369D8
	v_mfma_f32_16x16x32_fp8_fp8 v[236:239], a[218:219], v[182:183], v[236:239]// 00000000BBBC: D3F300EC 0FB36DDA
	v_mfma_f32_16x16x32_fp8_fp8 v[240:243], a[220:221], v[152:153], v[240:243]// 00000000BBC4: D3F300F0 0FC331DC
	buffer_load_dwordx4 a[108:111], v44, s[12:15], 0 offen     // 00000000BBCC: E05C1000 80836C2C
	v_mfma_f32_16x16x32_fp8_fp8 v[240:243], a[222:223], v[154:155], v[240:243]// 00000000BBD4: D3F300F0 0FC335DE
	v_mfma_f32_16x16x32_fp8_fp8 v[244:247], a[220:221], v[180:181], v[244:247]// 00000000BBDC: D3F300F4 0FD369DC
	v_mfma_f32_16x16x32_fp8_fp8 v[244:247], a[222:223], v[182:183], v[244:247]// 00000000BBE4: D3F300F4 0FD36DDE
	s_add_u32 s60, 0x200, s80                                  // 00000000BBEC: 803C50FF 00000200
	s_cmp_lt_u32 s60, s81                                      // 00000000BBF4: BF0A513C
	s_cselect_b32 s56, s56, 0                                  // 00000000BBF8: 85388038
	s_cselect_b32 s78, s78, 0                                  // 00000000BBFC: 854E804E
	s_cselect_b32 s79, s79, 0                                  // 00000000BC00: 854F804F
	s_add_u32 s12, s56, s12                                    // 00000000BC04: 800C0C38
	s_addc_u32 s13, 0, s13                                     // 00000000BC08: 820D0D80
	s_add_u32 s16, s79, s16                                    // 00000000BC0C: 8010104F
	s_addc_u32 s17, 0, s17                                     // 00000000BC10: 82111180
	v_mul_f32_e32 v216, v24, v216                              // 00000000BC14: 0BB1B118
	v_mul_f32_e32 v217, v24, v217                              // 00000000BC18: 0BB3B318
	v_mul_f32_e32 v218, v24, v218                              // 00000000BC1C: 0BB5B518
	v_mul_f32_e32 v219, v24, v219                              // 00000000BC20: 0BB7B718
	v_mul_f32_dpp v216, v13, v216 row_newbcast:0 row_mask:0xf bank_mask:0xf// 00000000BC24: 0BB1B0FA FF01500D
	v_mul_f32_dpp v217, v13, v217 row_newbcast:1 row_mask:0xf bank_mask:0xf// 00000000BC2C: 0BB3B2FA FF01510D
	v_mul_f32_dpp v218, v13, v218 row_newbcast:2 row_mask:0xf bank_mask:0xf// 00000000BC34: 0BB5B4FA FF01520D
	v_mul_f32_dpp v219, v13, v219 row_newbcast:3 row_mask:0xf bank_mask:0xf// 00000000BC3C: 0BB7B6FA FF01530D
	v_mul_f32_e32 v220, v25, v220                              // 00000000BC44: 0BB9B919
	v_mul_f32_e32 v221, v25, v221                              // 00000000BC48: 0BBBBB19
	v_mul_f32_e32 v222, v25, v222                              // 00000000BC4C: 0BBDBD19
	v_mul_f32_e32 v223, v25, v223                              // 00000000BC50: 0BBFBF19
	v_mul_f32_dpp v220, v13, v220 row_newbcast:0 row_mask:0xf bank_mask:0xf// 00000000BC54: 0BB9B8FA FF01500D
	v_mul_f32_dpp v221, v13, v221 row_newbcast:1 row_mask:0xf bank_mask:0xf// 00000000BC5C: 0BBBBAFA FF01510D
	v_mul_f32_dpp v222, v13, v222 row_newbcast:2 row_mask:0xf bank_mask:0xf// 00000000BC64: 0BBDBCFA FF01520D
	v_mul_f32_dpp v223, v13, v223 row_newbcast:3 row_mask:0xf bank_mask:0xf// 00000000BC6C: 0BBFBEFA FF01530D
	v_mul_f32_e32 v224, v24, v224                              // 00000000BC74: 0BC1C118
	v_mul_f32_e32 v225, v24, v225                              // 00000000BC78: 0BC3C318
	v_mul_f32_e32 v226, v24, v226                              // 00000000BC7C: 0BC5C518
	v_mul_f32_e32 v227, v24, v227                              // 00000000BC80: 0BC7C718
	v_mul_f32_dpp v224, v13, v224 row_newbcast:4 row_mask:0xf bank_mask:0xf// 00000000BC84: 0BC1C0FA FF01540D
	v_mul_f32_dpp v225, v13, v225 row_newbcast:5 row_mask:0xf bank_mask:0xf// 00000000BC8C: 0BC3C2FA FF01550D
	v_mul_f32_dpp v226, v13, v226 row_newbcast:6 row_mask:0xf bank_mask:0xf// 00000000BC94: 0BC5C4FA FF01560D
	v_mul_f32_dpp v227, v13, v227 row_newbcast:7 row_mask:0xf bank_mask:0xf// 00000000BC9C: 0BC7C6FA FF01570D
	v_mul_f32_e32 v228, v25, v228                              // 00000000BCA4: 0BC9C919
	v_mul_f32_e32 v229, v25, v229                              // 00000000BCA8: 0BCBCB19
	v_mul_f32_e32 v230, v25, v230                              // 00000000BCAC: 0BCDCD19
	v_mul_f32_e32 v231, v25, v231                              // 00000000BCB0: 0BCFCF19
	v_mul_f32_dpp v228, v13, v228 row_newbcast:4 row_mask:0xf bank_mask:0xf// 00000000BCB4: 0BC9C8FA FF01540D
	v_mul_f32_dpp v229, v13, v229 row_newbcast:5 row_mask:0xf bank_mask:0xf// 00000000BCBC: 0BCBCAFA FF01550D
	v_mul_f32_dpp v230, v13, v230 row_newbcast:6 row_mask:0xf bank_mask:0xf// 00000000BCC4: 0BCDCCFA FF01560D
	v_mul_f32_dpp v231, v13, v231 row_newbcast:7 row_mask:0xf bank_mask:0xf// 00000000BCCC: 0BCFCEFA FF01570D
	v_mul_f32_e32 v232, v24, v232                              // 00000000BCD4: 0BD1D118
	v_mul_f32_e32 v233, v24, v233                              // 00000000BCD8: 0BD3D318
	v_mul_f32_e32 v234, v24, v234                              // 00000000BCDC: 0BD5D518
	v_mul_f32_e32 v235, v24, v235                              // 00000000BCE0: 0BD7D718
	v_mul_f32_dpp v232, v13, v232 row_newbcast:8 row_mask:0xf bank_mask:0xf// 00000000BCE4: 0BD1D0FA FF01580D
	v_mul_f32_dpp v233, v13, v233 row_newbcast:9 row_mask:0xf bank_mask:0xf// 00000000BCEC: 0BD3D2FA FF01590D
	v_mul_f32_dpp v234, v13, v234 row_newbcast:10 row_mask:0xf bank_mask:0xf// 00000000BCF4: 0BD5D4FA FF015A0D
	v_mul_f32_dpp v235, v13, v235 row_newbcast:11 row_mask:0xf bank_mask:0xf// 00000000BCFC: 0BD7D6FA FF015B0D
	v_mul_f32_e32 v236, v25, v236                              // 00000000BD04: 0BD9D919
	v_mul_f32_e32 v237, v25, v237                              // 00000000BD08: 0BDBDB19
	v_mul_f32_e32 v238, v25, v238                              // 00000000BD0C: 0BDDDD19
	v_mul_f32_e32 v239, v25, v239                              // 00000000BD10: 0BDFDF19
	v_mul_f32_dpp v236, v13, v236 row_newbcast:8 row_mask:0xf bank_mask:0xf// 00000000BD14: 0BD9D8FA FF01580D
	v_mul_f32_dpp v237, v13, v237 row_newbcast:9 row_mask:0xf bank_mask:0xf// 00000000BD1C: 0BDBDAFA FF01590D
	v_mul_f32_dpp v238, v13, v238 row_newbcast:10 row_mask:0xf bank_mask:0xf// 00000000BD24: 0BDDDCFA FF015A0D
	v_mul_f32_dpp v239, v13, v239 row_newbcast:11 row_mask:0xf bank_mask:0xf// 00000000BD2C: 0BDFDEFA FF015B0D
	v_mul_f32_e32 v240, v24, v240                              // 00000000BD34: 0BE1E118
	v_mul_f32_e32 v241, v24, v241                              // 00000000BD38: 0BE3E318
	v_mul_f32_e32 v242, v24, v242                              // 00000000BD3C: 0BE5E518
	v_mul_f32_e32 v243, v24, v243                              // 00000000BD40: 0BE7E718
	v_mul_f32_dpp v240, v13, v240 row_newbcast:12 row_mask:0xf bank_mask:0xf// 00000000BD44: 0BE1E0FA FF015C0D
	v_mul_f32_dpp v241, v13, v241 row_newbcast:13 row_mask:0xf bank_mask:0xf// 00000000BD4C: 0BE3E2FA FF015D0D
	v_mul_f32_dpp v242, v13, v242 row_newbcast:14 row_mask:0xf bank_mask:0xf// 00000000BD54: 0BE5E4FA FF015E0D
	v_mul_f32_dpp v243, v13, v243 row_newbcast:15 row_mask:0xf bank_mask:0xf// 00000000BD5C: 0BE7E6FA FF015F0D
	v_mul_f32_e32 v244, v25, v244                              // 00000000BD64: 0BE9E919
	v_mul_f32_e32 v245, v25, v245                              // 00000000BD68: 0BEBEB19
	v_mul_f32_e32 v246, v25, v246                              // 00000000BD6C: 0BEDED19
	v_mul_f32_e32 v247, v25, v247                              // 00000000BD70: 0BEFEF19
	v_mul_f32_dpp v244, v13, v244 row_newbcast:12 row_mask:0xf bank_mask:0xf// 00000000BD74: 0BE9E8FA FF015C0D
	v_mul_f32_dpp v245, v13, v245 row_newbcast:13 row_mask:0xf bank_mask:0xf// 00000000BD7C: 0BEBEAFA FF015D0D
	v_mul_f32_dpp v246, v13, v246 row_newbcast:14 row_mask:0xf bank_mask:0xf// 00000000BD84: 0BEDECFA FF015E0D
	v_mul_f32_dpp v247, v13, v247 row_newbcast:15 row_mask:0xf bank_mask:0xf// 00000000BD8C: 0BEFEEFA FF015F0D
	v_cmp_u_f32_e64 s[48:49], v216, v216                       // 00000000BD94: D0480030 0003B1D8
	v_add3_u32 v45, v216, v48, 1                               // 00000000BD9C: D1FF002D 020661D8
	v_cndmask_b32_e64 v52, v45, v47, s[48:49]                  // 00000000BDA4: D1000034 00C25F2D
	v_cmp_u_f32_e64 s[48:49], v217, v217                       // 00000000BDAC: D0480030 0003B3D9
	v_add3_u32 v45, v217, v48, 1                               // 00000000BDB4: D1FF002D 020661D9
	v_cndmask_b32_e64 v53, v45, v47, s[48:49]                  // 00000000BDBC: D1000035 00C25F2D
	v_perm_b32 v216, v53, v52, s52                             // 00000000BDC4: D1ED00D8 00D26935
	v_cmp_u_f32_e64 s[48:49], v218, v218                       // 00000000BDCC: D0480030 0003B5DA
	v_add3_u32 v45, v218, v48, 1                               // 00000000BDD4: D1FF002D 020661DA
	v_cndmask_b32_e64 v52, v45, v47, s[48:49]                  // 00000000BDDC: D1000034 00C25F2D
	v_cmp_u_f32_e64 s[48:49], v219, v219                       // 00000000BDE4: D0480030 0003B7DB
	v_add3_u32 v45, v219, v48, 1                               // 00000000BDEC: D1FF002D 020661DB
	v_cndmask_b32_e64 v53, v45, v47, s[48:49]                  // 00000000BDF4: D1000035 00C25F2D
	v_perm_b32 v217, v53, v52, s52                             // 00000000BDFC: D1ED00D9 00D26935
	v_cmp_u_f32_e64 s[48:49], v220, v220                       // 00000000BE04: D0480030 0003B9DC
	v_add3_u32 v45, v220, v48, 1                               // 00000000BE0C: D1FF002D 020661DC
	v_cndmask_b32_e64 v52, v45, v47, s[48:49]                  // 00000000BE14: D1000034 00C25F2D
	v_cmp_u_f32_e64 s[48:49], v221, v221                       // 00000000BE1C: D0480030 0003BBDD
	v_add3_u32 v45, v221, v48, 1                               // 00000000BE24: D1FF002D 020661DD
	v_cndmask_b32_e64 v53, v45, v47, s[48:49]                  // 00000000BE2C: D1000035 00C25F2D
	v_perm_b32 v218, v53, v52, s52                             // 00000000BE34: D1ED00DA 00D26935
	v_cmp_u_f32_e64 s[48:49], v222, v222                       // 00000000BE3C: D0480030 0003BDDE
	v_add3_u32 v45, v222, v48, 1                               // 00000000BE44: D1FF002D 020661DE
	v_cndmask_b32_e64 v52, v45, v47, s[48:49]                  // 00000000BE4C: D1000034 00C25F2D
	v_cmp_u_f32_e64 s[48:49], v223, v223                       // 00000000BE54: D0480030 0003BFDF
	v_add3_u32 v45, v223, v48, 1                               // 00000000BE5C: D1FF002D 020661DF
	v_cndmask_b32_e64 v53, v45, v47, s[48:49]                  // 00000000BE64: D1000035 00C25F2D
	v_perm_b32 v219, v53, v52, s52                             // 00000000BE6C: D1ED00DB 00D26935
	v_cmp_u_f32_e64 s[48:49], v224, v224                       // 00000000BE74: D0480030 0003C1E0
	v_add3_u32 v45, v224, v48, 1                               // 00000000BE7C: D1FF002D 020661E0
	v_cndmask_b32_e64 v52, v45, v47, s[48:49]                  // 00000000BE84: D1000034 00C25F2D
	v_cmp_u_f32_e64 s[48:49], v225, v225                       // 00000000BE8C: D0480030 0003C3E1
	v_add3_u32 v45, v225, v48, 1                               // 00000000BE94: D1FF002D 020661E1
	v_cndmask_b32_e64 v53, v45, v47, s[48:49]                  // 00000000BE9C: D1000035 00C25F2D
	v_perm_b32 v220, v53, v52, s52                             // 00000000BEA4: D1ED00DC 00D26935
	v_cmp_u_f32_e64 s[48:49], v226, v226                       // 00000000BEAC: D0480030 0003C5E2
	v_add3_u32 v45, v226, v48, 1                               // 00000000BEB4: D1FF002D 020661E2
	v_cndmask_b32_e64 v52, v45, v47, s[48:49]                  // 00000000BEBC: D1000034 00C25F2D
	v_cmp_u_f32_e64 s[48:49], v227, v227                       // 00000000BEC4: D0480030 0003C7E3
	v_add3_u32 v45, v227, v48, 1                               // 00000000BECC: D1FF002D 020661E3
	v_cndmask_b32_e64 v53, v45, v47, s[48:49]                  // 00000000BED4: D1000035 00C25F2D
	v_perm_b32 v221, v53, v52, s52                             // 00000000BEDC: D1ED00DD 00D26935
	v_cmp_u_f32_e64 s[48:49], v228, v228                       // 00000000BEE4: D0480030 0003C9E4
	v_add3_u32 v45, v228, v48, 1                               // 00000000BEEC: D1FF002D 020661E4
	v_cndmask_b32_e64 v52, v45, v47, s[48:49]                  // 00000000BEF4: D1000034 00C25F2D
	v_cmp_u_f32_e64 s[48:49], v229, v229                       // 00000000BEFC: D0480030 0003CBE5
	v_add3_u32 v45, v229, v48, 1                               // 00000000BF04: D1FF002D 020661E5
	v_cndmask_b32_e64 v53, v45, v47, s[48:49]                  // 00000000BF0C: D1000035 00C25F2D
	v_perm_b32 v222, v53, v52, s52                             // 00000000BF14: D1ED00DE 00D26935
	v_cmp_u_f32_e64 s[48:49], v230, v230                       // 00000000BF1C: D0480030 0003CDE6
	v_add3_u32 v45, v230, v48, 1                               // 00000000BF24: D1FF002D 020661E6
	v_cndmask_b32_e64 v52, v45, v47, s[48:49]                  // 00000000BF2C: D1000034 00C25F2D
	v_cmp_u_f32_e64 s[48:49], v231, v231                       // 00000000BF34: D0480030 0003CFE7
	v_add3_u32 v45, v231, v48, 1                               // 00000000BF3C: D1FF002D 020661E7
	v_cndmask_b32_e64 v53, v45, v47, s[48:49]                  // 00000000BF44: D1000035 00C25F2D
	v_perm_b32 v223, v53, v52, s52                             // 00000000BF4C: D1ED00DF 00D26935
	v_cmp_u_f32_e64 s[48:49], v232, v232                       // 00000000BF54: D0480030 0003D1E8
	v_add3_u32 v45, v232, v48, 1                               // 00000000BF5C: D1FF002D 020661E8
	v_cndmask_b32_e64 v52, v45, v47, s[48:49]                  // 00000000BF64: D1000034 00C25F2D
	v_cmp_u_f32_e64 s[48:49], v233, v233                       // 00000000BF6C: D0480030 0003D3E9
	v_add3_u32 v45, v233, v48, 1                               // 00000000BF74: D1FF002D 020661E9
	v_cndmask_b32_e64 v53, v45, v47, s[48:49]                  // 00000000BF7C: D1000035 00C25F2D
	v_perm_b32 v224, v53, v52, s52                             // 00000000BF84: D1ED00E0 00D26935
	v_cmp_u_f32_e64 s[48:49], v234, v234                       // 00000000BF8C: D0480030 0003D5EA
	v_add3_u32 v45, v234, v48, 1                               // 00000000BF94: D1FF002D 020661EA
	v_cndmask_b32_e64 v52, v45, v47, s[48:49]                  // 00000000BF9C: D1000034 00C25F2D
	v_cmp_u_f32_e64 s[48:49], v235, v235                       // 00000000BFA4: D0480030 0003D7EB
	v_add3_u32 v45, v235, v48, 1                               // 00000000BFAC: D1FF002D 020661EB
	v_cndmask_b32_e64 v53, v45, v47, s[48:49]                  // 00000000BFB4: D1000035 00C25F2D
	v_perm_b32 v225, v53, v52, s52                             // 00000000BFBC: D1ED00E1 00D26935
	v_cmp_u_f32_e64 s[48:49], v236, v236                       // 00000000BFC4: D0480030 0003D9EC
	v_add3_u32 v45, v236, v48, 1                               // 00000000BFCC: D1FF002D 020661EC
	v_cndmask_b32_e64 v52, v45, v47, s[48:49]                  // 00000000BFD4: D1000034 00C25F2D
	v_cmp_u_f32_e64 s[48:49], v237, v237                       // 00000000BFDC: D0480030 0003DBED
	v_add3_u32 v45, v237, v48, 1                               // 00000000BFE4: D1FF002D 020661ED
	v_cndmask_b32_e64 v53, v45, v47, s[48:49]                  // 00000000BFEC: D1000035 00C25F2D
	v_perm_b32 v226, v53, v52, s52                             // 00000000BFF4: D1ED00E2 00D26935
	v_cmp_u_f32_e64 s[48:49], v238, v238                       // 00000000BFFC: D0480030 0003DDEE
	v_add3_u32 v45, v238, v48, 1                               // 00000000C004: D1FF002D 020661EE
	v_cndmask_b32_e64 v52, v45, v47, s[48:49]                  // 00000000C00C: D1000034 00C25F2D
	v_cmp_u_f32_e64 s[48:49], v239, v239                       // 00000000C014: D0480030 0003DFEF
	v_add3_u32 v45, v239, v48, 1                               // 00000000C01C: D1FF002D 020661EF
	v_cndmask_b32_e64 v53, v45, v47, s[48:49]                  // 00000000C024: D1000035 00C25F2D
	v_perm_b32 v227, v53, v52, s52                             // 00000000C02C: D1ED00E3 00D26935
	v_cmp_u_f32_e64 s[48:49], v240, v240                       // 00000000C034: D0480030 0003E1F0
	v_add3_u32 v45, v240, v48, 1                               // 00000000C03C: D1FF002D 020661F0
	v_cndmask_b32_e64 v52, v45, v47, s[48:49]                  // 00000000C044: D1000034 00C25F2D
	v_cmp_u_f32_e64 s[48:49], v241, v241                       // 00000000C04C: D0480030 0003E3F1
	v_add3_u32 v45, v241, v48, 1                               // 00000000C054: D1FF002D 020661F1
	v_cndmask_b32_e64 v53, v45, v47, s[48:49]                  // 00000000C05C: D1000035 00C25F2D
	v_perm_b32 v228, v53, v52, s52                             // 00000000C064: D1ED00E4 00D26935
	v_cmp_u_f32_e64 s[48:49], v242, v242                       // 00000000C06C: D0480030 0003E5F2
	v_add3_u32 v45, v242, v48, 1                               // 00000000C074: D1FF002D 020661F2
	v_cndmask_b32_e64 v52, v45, v47, s[48:49]                  // 00000000C07C: D1000034 00C25F2D
	v_cmp_u_f32_e64 s[48:49], v243, v243                       // 00000000C084: D0480030 0003E7F3
	v_add3_u32 v45, v243, v48, 1                               // 00000000C08C: D1FF002D 020661F3
	v_cndmask_b32_e64 v53, v45, v47, s[48:49]                  // 00000000C094: D1000035 00C25F2D
	v_perm_b32 v229, v53, v52, s52                             // 00000000C09C: D1ED00E5 00D26935
	v_cmp_u_f32_e64 s[48:49], v244, v244                       // 00000000C0A4: D0480030 0003E9F4
	v_add3_u32 v45, v244, v48, 1                               // 00000000C0AC: D1FF002D 020661F4
	v_cndmask_b32_e64 v52, v45, v47, s[48:49]                  // 00000000C0B4: D1000034 00C25F2D
	v_cmp_u_f32_e64 s[48:49], v245, v245                       // 00000000C0BC: D0480030 0003EBF5
	v_add3_u32 v45, v245, v48, 1                               // 00000000C0C4: D1FF002D 020661F5
	v_cndmask_b32_e64 v53, v45, v47, s[48:49]                  // 00000000C0CC: D1000035 00C25F2D
	v_perm_b32 v230, v53, v52, s52                             // 00000000C0D4: D1ED00E6 00D26935
	v_cmp_u_f32_e64 s[48:49], v246, v246                       // 00000000C0DC: D0480030 0003EDF6
	v_add3_u32 v45, v246, v48, 1                               // 00000000C0E4: D1FF002D 020661F6
	v_cndmask_b32_e64 v52, v45, v47, s[48:49]                  // 00000000C0EC: D1000034 00C25F2D
	v_cmp_u_f32_e64 s[48:49], v247, v247                       // 00000000C0F4: D0480030 0003EFF7
	v_add3_u32 v45, v247, v48, 1                               // 00000000C0FC: D1FF002D 020661F7
	v_cndmask_b32_e64 v53, v45, v47, s[48:49]                  // 00000000C104: D1000035 00C25F2D
	v_perm_b32 v231, v53, v52, s52                             // 00000000C10C: D1ED00E7 00D26935
	ds_write_b64 v3, v[216:217] offset:33024                   // 00000000C114: D89A8100 0000D803
	ds_write_b64 v3, v[218:219] offset:41728                   // 00000000C11C: D89AA300 0000DA03
	ds_write_b64 v3, v[220:221] offset:35200                   // 00000000C124: D89A8980 0000DC03
	ds_write_b64 v3, v[222:223] offset:43904                   // 00000000C12C: D89AAB80 0000DE03
	ds_write_b64 v3, v[224:225] offset:37376                   // 00000000C134: D89A9200 0000E003
	ds_write_b64 v3, v[226:227] offset:46080                   // 00000000C13C: D89AB400 0000E203
	ds_write_b64 v3, v[228:229] offset:39552                   // 00000000C144: D89A9A80 0000E403
	ds_write_b64 v3, v[230:231] offset:48256                   // 00000000C14C: D89ABC80 0000E603
	s_waitcnt lgkmcnt(0)                                       // 00000000C154: BF8CC07F
	s_barrier                                                  // 00000000C158: BF8A0000
	ds_read_b32 v64, v4 offset:33024                           // 00000000C15C: D86C8100 40000004
	ds_read_b32 v65, v4 offset:37376                           // 00000000C164: D86C9200 41000004
	ds_read_b32 v66, v4 offset:33056                           // 00000000C16C: D86C8120 42000004
	ds_read_b32 v67, v4 offset:37408                           // 00000000C174: D86C9220 43000004
	ds_read_b32 v68, v4 offset:33088                           // 00000000C17C: D86C8140 44000004
	ds_read_b32 v69, v4 offset:37440                           // 00000000C184: D86C9240 45000004
	ds_read_b32 v70, v4 offset:33120                           // 00000000C18C: D86C8160 46000004
	ds_read_b32 v71, v4 offset:37472                           // 00000000C194: D86C9260 47000004
	ds_read_b32 v72, v4 offset:41728                           // 00000000C19C: D86CA300 48000004
	ds_read_b32 v73, v4 offset:46080                           // 00000000C1A4: D86CB400 49000004
	ds_read_b32 v74, v4 offset:41760                           // 00000000C1AC: D86CA320 4A000004
	ds_read_b32 v75, v4 offset:46112                           // 00000000C1B4: D86CB420 4B000004
	ds_read_b32 v76, v4 offset:41792                           // 00000000C1BC: D86CA340 4C000004
	ds_read_b32 v77, v4 offset:46144                           // 00000000C1C4: D86CB440 4D000004
	ds_read_b32 v78, v4 offset:41824                           // 00000000C1CC: D86CA360 4E000004
	ds_read_b32 v79, v4 offset:46176                           // 00000000C1D4: D86CB460 4F000004
	s_waitcnt lgkmcnt(0)                                       // 00000000C1DC: BF8CC07F
	s_mov_b64 exec, s[20:21]                                   // 00000000C1E0: BEFE0114
	global_atomic_pk_add_f16 v80, v64, s[8:9]                  // 00000000C1E4: DD388000 00084050
	s_mov_b64 exec, s[36:37]                                   // 00000000C1EC: BEFE0124
	s_mov_b64 exec, s[20:21]                                   // 00000000C1F0: BEFE0114
	global_atomic_pk_add_f16 v80, v65, s[8:9] offset:256       // 00000000C1F4: DD388100 00084150
	s_mov_b64 exec, s[36:37]                                   // 00000000C1FC: BEFE0124
	s_mov_b64 exec, s[22:23]                                   // 00000000C200: BEFE0116
	global_atomic_pk_add_f16 v82, v66, s[8:9]                  // 00000000C204: DD388000 00084252
	s_mov_b64 exec, s[36:37]                                   // 00000000C20C: BEFE0124
	s_mov_b64 exec, s[22:23]                                   // 00000000C210: BEFE0116
	global_atomic_pk_add_f16 v82, v67, s[8:9] offset:256       // 00000000C214: DD388100 00084352
	s_mov_b64 exec, s[36:37]                                   // 00000000C21C: BEFE0124
	s_mov_b64 exec, s[24:25]                                   // 00000000C220: BEFE0118
	global_atomic_pk_add_f16 v84, v68, s[8:9]                  // 00000000C224: DD388000 00084454
	s_mov_b64 exec, s[36:37]                                   // 00000000C22C: BEFE0124
	s_mov_b64 exec, s[24:25]                                   // 00000000C230: BEFE0118
	global_atomic_pk_add_f16 v84, v69, s[8:9] offset:256       // 00000000C234: DD388100 00084554
	s_mov_b64 exec, s[36:37]                                   // 00000000C23C: BEFE0124
	s_mov_b64 exec, s[26:27]                                   // 00000000C240: BEFE011A
	global_atomic_pk_add_f16 v86, v70, s[8:9]                  // 00000000C244: DD388000 00084656
	s_mov_b64 exec, s[36:37]                                   // 00000000C24C: BEFE0124
	s_mov_b64 exec, s[26:27]                                   // 00000000C250: BEFE011A
	global_atomic_pk_add_f16 v86, v71, s[8:9] offset:256       // 00000000C254: DD388100 00084756
	s_mov_b64 exec, s[36:37]                                   // 00000000C25C: BEFE0124
	s_mov_b64 exec, s[28:29]                                   // 00000000C260: BEFE011C
	global_atomic_pk_add_f16 v88, v72, s[8:9]                  // 00000000C264: DD388000 00084858
	s_mov_b64 exec, s[36:37]                                   // 00000000C26C: BEFE0124
	s_mov_b64 exec, s[28:29]                                   // 00000000C270: BEFE011C
	global_atomic_pk_add_f16 v88, v73, s[8:9] offset:256       // 00000000C274: DD388100 00084958
	s_mov_b64 exec, s[36:37]                                   // 00000000C27C: BEFE0124
	s_mov_b64 exec, s[30:31]                                   // 00000000C280: BEFE011E
	global_atomic_pk_add_f16 v90, v74, s[8:9]                  // 00000000C284: DD388000 00084A5A
	s_mov_b64 exec, s[36:37]                                   // 00000000C28C: BEFE0124
	s_mov_b64 exec, s[30:31]                                   // 00000000C290: BEFE011E
	global_atomic_pk_add_f16 v90, v75, s[8:9] offset:256       // 00000000C294: DD388100 00084B5A
	s_mov_b64 exec, s[36:37]                                   // 00000000C29C: BEFE0124
	s_mov_b64 exec, s[32:33]                                   // 00000000C2A0: BEFE0120
	global_atomic_pk_add_f16 v92, v76, s[8:9]                  // 00000000C2A4: DD388000 00084C5C
	s_mov_b64 exec, s[36:37]                                   // 00000000C2AC: BEFE0124
	s_mov_b64 exec, s[32:33]                                   // 00000000C2B0: BEFE0120
	global_atomic_pk_add_f16 v92, v77, s[8:9] offset:256       // 00000000C2B4: DD388100 00084D5C
	s_mov_b64 exec, s[36:37]                                   // 00000000C2BC: BEFE0124
	s_mov_b64 exec, s[34:35]                                   // 00000000C2C0: BEFE0122
	global_atomic_pk_add_f16 v94, v78, s[8:9]                  // 00000000C2C4: DD388000 00084E5E
	s_mov_b64 exec, s[36:37]                                   // 00000000C2CC: BEFE0124
	s_mov_b64 exec, s[34:35]                                   // 00000000C2D0: BEFE0122
	global_atomic_pk_add_f16 v94, v79, s[8:9] offset:256       // 00000000C2D4: DD388100 00084F5E
	s_mov_b64 exec, s[36:37]                                   // 00000000C2DC: BEFE0124
	s_add_u32 s8, s59, s8                                      // 00000000C2E0: 8008083B
	s_addc_u32 s9, 0, s9                                       // 00000000C2E4: 82090980
	s_addk_i32 s80, 0x100                                      // 00000000C2E8: B7500100
	s_cmp_lt_i32 s80, s81                                      // 00000000C2EC: BF045150
	s_cbranch_scc0 label_140E                                  // 00000000C2F0: BF84EED1
	s_branch label_1F5D                                        // 00000000C2F4: BF82FA1F

000000000000c2f8 <label_253E>:
	s_waitcnt vmcnt(0) expcnt(0) lgkmcnt(0)                    // 00000000C2F8: BF8C0000
	s_add_u32 s100, s100, 1                                    // 00000000C2FC: 80648164
	s_cmp_eq_u32 s96, 0                                        // 00000000C300: BF068060
	s_cbranch_scc0 label_0039                                  // 00000000C304: BF84DAF7

000000000000c308 <label_2542>:
	s_waitcnt vmcnt(0) expcnt(0) lgkmcnt(0)                    // 00000000C308: BF8C0000
	s_endpgm                                                   // 00000000C30C: BF810000
